;; amdgpu-corpus repo=ROCm/rocFFT kind=compiled arch=gfx1030 opt=O3
	.text
	.amdgcn_target "amdgcn-amd-amdhsa--gfx1030"
	.amdhsa_code_object_version 6
	.protected	bluestein_single_fwd_len1156_dim1_dp_op_CI_CI ; -- Begin function bluestein_single_fwd_len1156_dim1_dp_op_CI_CI
	.globl	bluestein_single_fwd_len1156_dim1_dp_op_CI_CI
	.p2align	8
	.type	bluestein_single_fwd_len1156_dim1_dp_op_CI_CI,@function
bluestein_single_fwd_len1156_dim1_dp_op_CI_CI: ; @bluestein_single_fwd_len1156_dim1_dp_op_CI_CI
; %bb.0:
	s_load_dwordx4 s[12:15], s[4:5], 0x28
	v_mul_u32_u24_e32 v1, 0x3c4, v0
	s_mov_b64 s[58:59], s[2:3]
	s_mov_b64 s[56:57], s[0:1]
	s_add_u32 s56, s56, s7
	v_lshrrev_b32_e32 v1, 16, v1
	s_addc_u32 s57, s57, 0
	v_mad_u64_u32 v[66:67], null, s6, 3, v[1:2]
	v_mov_b32_e32 v67, 0
                                        ; kill: def $vgpr2 killed $sgpr0 killed $exec
	s_mov_b32 s0, exec_lo
	s_waitcnt lgkmcnt(0)
	v_cmpx_gt_u64_e64 s[12:13], v[66:67]
	s_cbranch_execz .LBB0_18
; %bb.1:
	s_clause 0x1
	s_load_dwordx4 s[8:11], s[4:5], 0x18
	s_load_dwordx4 s[0:3], s[4:5], 0x0
	v_mul_lo_u16 v1, 0x44, v1
	s_mov_b32 s30, 0x5d8e7cdc
	s_mov_b32 s38, 0x2a9d6da3
	;; [unrolled: 1-line block ×4, first 2 shown]
	v_sub_nc_u16 v108, v0, v1
	s_mov_b32 s22, 0x923c349f
	s_mov_b32 s24, 0x6c9a05f6
	;; [unrolled: 1-line block ×4, first 2 shown]
	v_and_b32_e32 v7, 0xffff, v108
	s_mov_b32 s31, 0xbfd71e95
	s_mov_b32 s39, 0xbfe58eea
	;; [unrolled: 1-line block ×4, first 2 shown]
	v_lshlrev_b32_e32 v241, 4, v7
	buffer_store_dword v7, off, s[56:59], 0 ; 4-byte Folded Spill
	s_mov_b32 s23, 0xbfeec746
	s_waitcnt lgkmcnt(0)
	s_load_dwordx4 s[16:19], s[8:9], 0x0
	s_mov_b32 s25, 0xbfe9895b
	s_mov_b32 s27, 0xbfe0d888
	;; [unrolled: 1-line block ×19, first 2 shown]
	s_waitcnt lgkmcnt(0)
	v_mad_u64_u32 v[0:1], null, s18, v66, 0
	v_mad_u64_u32 v[2:3], null, s16, v7, 0
	s_mul_i32 s6, s17, 0x440
	s_mul_hi_u32 s8, s16, 0x440
	s_mul_i32 s7, s16, 0x440
	s_add_i32 s6, s8, s6
	s_mov_b32 s53, 0x3fe9895b
	s_mov_b32 s52, s24
	v_mad_u64_u32 v[4:5], null, s19, v66, v[1:2]
	s_mov_b32 s18, 0x6ed5f1bb
	s_mov_b32 s19, 0xbfe348c8
	s_load_dwordx2 s[4:5], s[4:5], 0x38
	v_mad_u64_u32 v[5:6], null, s17, v7, v[3:4]
	v_mov_b32_e32 v1, v4
	s_mov_b32 s16, 0x370991
	s_mov_b32 s17, 0x3fedd6d0
	v_lshlrev_b64 v[0:1], 4, v[0:1]
	v_mov_b32_e32 v3, v5
	v_add_co_u32 v0, vcc_lo, s14, v0
	v_lshlrev_b64 v[2:3], 4, v[2:3]
	v_add_co_ci_u32_e32 v1, vcc_lo, s15, v1, vcc_lo
	s_mov_b32 s14, 0xc61f0d01
	s_mov_b32 s15, 0xbfd183b1
	v_add_co_u32 v4, vcc_lo, v0, v2
	v_add_co_ci_u32_e32 v5, vcc_lo, v1, v3, vcc_lo
	global_load_dwordx4 v[62:65], v241, s[0:1]
	global_load_dwordx4 v[0:3], v[4:5], off
	v_add_co_u32 v8, vcc_lo, v4, s7
	v_add_co_ci_u32_e32 v9, vcc_lo, s6, v5, vcc_lo
	global_load_dwordx4 v[68:71], v241, s[0:1] offset:1088
	global_load_dwordx4 v[4:7], v[8:9], off
	v_add_co_u32 v67, s0, s0, v241
	v_add_co_ci_u32_e64 v240, null, s1, 0, s0
	s_mov_b32 s0, 0x3259b75e
	v_add_co_u32 v12, vcc_lo, 0x800, v67
	v_add_co_ci_u32_e32 v13, vcc_lo, 0, v240, vcc_lo
	v_add_co_u32 v14, vcc_lo, v8, s7
	v_add_co_ci_u32_e32 v15, vcc_lo, s6, v9, vcc_lo
	global_load_dwordx4 v[76:79], v[12:13], off offset:128
	global_load_dwordx4 v[8:11], v[14:15], off
	v_add_co_u32 v16, vcc_lo, v14, s7
	v_add_co_ci_u32_e32 v17, vcc_lo, s6, v15, vcc_lo
	v_add_co_u32 v20, vcc_lo, 0x1000, v67
	v_add_co_ci_u32_e32 v21, vcc_lo, 0, v240, vcc_lo
	v_add_co_u32 v22, vcc_lo, v16, s7
	v_add_co_ci_u32_e32 v23, vcc_lo, s6, v17, vcc_lo
	global_load_dwordx4 v[72:75], v[12:13], off offset:1216
	global_load_dwordx4 v[12:15], v[16:17], off
	v_add_co_u32 v24, vcc_lo, v22, s7
	v_add_co_ci_u32_e32 v25, vcc_lo, s6, v23, vcc_lo
	;; [unrolled: 8-line block ×5, first 2 shown]
	global_load_dwordx4 v[100:103], v[28:29], off offset:1472
	global_load_dwordx4 v[28:31], v[32:33], off
	v_add_co_u32 v56, vcc_lo, v48, s7
	v_add_co_ci_u32_e32 v57, vcc_lo, s6, v49, vcc_lo
	v_add_co_u32 v58, vcc_lo, 0x3000, v67
	v_add_co_ci_u32_e32 v59, vcc_lo, 0, v240, vcc_lo
	global_load_dwordx4 v[113:116], v[36:37], off offset:512
	global_load_dwordx4 v[32:35], v[38:39], off
	global_load_dwordx4 v[80:83], v[36:37], off offset:1600
	global_load_dwordx4 v[36:39], v[40:41], off
	;; [unrolled: 2-line block ×4, first 2 shown]
	global_load_dwordx4 v[48:51], v[56:57], off
	global_load_dwordx4 v[104:107], v[58:59], off offset:768
	s_mov_b32 s1, 0x3fb79ee6
	s_waitcnt vmcnt(24)
	v_mul_f64 v[52:53], v[2:3], v[64:65]
	v_mul_f64 v[54:55], v[0:1], v[64:65]
	s_waitcnt vmcnt(22)
	v_mul_f64 v[60:61], v[6:7], v[70:71]
	v_fma_f64 v[0:1], v[0:1], v[62:63], v[52:53]
	buffer_store_dword v62, off, s[56:59], 0 offset:24 ; 4-byte Folded Spill
	buffer_store_dword v63, off, s[56:59], 0 offset:28 ; 4-byte Folded Spill
	;; [unrolled: 1-line block ×4, first 2 shown]
	v_mul_f64 v[52:53], v[4:5], v[70:71]
	v_fma_f64 v[4:5], v[4:5], v[68:69], v[60:61]
	buffer_store_dword v68, off, s[56:59], 0 offset:40 ; 4-byte Folded Spill
	buffer_store_dword v69, off, s[56:59], 0 offset:44 ; 4-byte Folded Spill
	;; [unrolled: 1-line block ×4, first 2 shown]
	s_waitcnt vmcnt(18)
	v_mul_f64 v[60:61], v[14:15], v[74:75]
	s_waitcnt vmcnt(10)
	v_mul_f64 v[64:65], v[30:31], v[102:103]
	v_fma_f64 v[2:3], v[2:3], v[62:63], -v[54:55]
	v_mul_f64 v[54:55], v[10:11], v[78:79]
	v_mul_f64 v[62:63], v[26:27], v[111:112]
	v_fma_f64 v[6:7], v[6:7], v[68:69], -v[52:53]
	v_mul_f64 v[52:53], v[8:9], v[78:79]
	v_fma_f64 v[8:9], v[8:9], v[76:77], v[54:55]
	buffer_store_dword v76, off, s[56:59], 0 offset:72 ; 4-byte Folded Spill
	buffer_store_dword v77, off, s[56:59], 0 offset:76 ; 4-byte Folded Spill
	buffer_store_dword v78, off, s[56:59], 0 offset:80 ; 4-byte Folded Spill
	buffer_store_dword v79, off, s[56:59], 0 offset:84 ; 4-byte Folded Spill
	v_mul_f64 v[54:55], v[18:19], v[86:87]
	v_fma_f64 v[10:11], v[10:11], v[76:77], -v[52:53]
	v_mul_f64 v[52:53], v[12:13], v[74:75]
	v_fma_f64 v[12:13], v[12:13], v[72:73], v[60:61]
	buffer_store_dword v72, off, s[56:59], 0 offset:56 ; 4-byte Folded Spill
	buffer_store_dword v73, off, s[56:59], 0 offset:60 ; 4-byte Folded Spill
	buffer_store_dword v74, off, s[56:59], 0 offset:64 ; 4-byte Folded Spill
	buffer_store_dword v75, off, s[56:59], 0 offset:68 ; 4-byte Folded Spill
	;; [unrolled: 8-line block ×3, first 2 shown]
	v_mul_f64 v[54:55], v[20:21], v[90:91]
	v_fma_f64 v[18:19], v[18:19], v[84:85], -v[52:53]
	v_fma_f64 v[52:53], v[20:21], v[88:89], v[60:61]
	buffer_store_dword v88, off, s[56:59], 0 offset:120 ; 4-byte Folded Spill
	buffer_store_dword v89, off, s[56:59], 0 offset:124 ; 4-byte Folded Spill
	;; [unrolled: 1-line block ×4, first 2 shown]
	v_mul_f64 v[60:61], v[24:25], v[111:112]
	v_mul_hi_u32 v20, 0xaaaaaaab, v66
	v_lshrrev_b32_e32 v20, 1, v20
	v_lshl_add_u32 v20, v20, 1, v20
	v_sub_nc_u32_e32 v20, v66, v20
	v_mul_u32_u24_e32 v20, 0x484, v20
	v_lshlrev_b32_e32 v172, 4, v20
	v_add_nc_u32_e32 v20, v241, v172
	v_fma_f64 v[54:55], v[22:23], v[88:89], -v[54:55]
	v_fma_f64 v[21:22], v[24:25], v[109:110], v[62:63]
	buffer_store_dword v109, off, s[56:59], 0 offset:200 ; 4-byte Folded Spill
	buffer_store_dword v110, off, s[56:59], 0 offset:204 ; 4-byte Folded Spill
	buffer_store_dword v111, off, s[56:59], 0 offset:208 ; 4-byte Folded Spill
	buffer_store_dword v112, off, s[56:59], 0 offset:212 ; 4-byte Folded Spill
	s_waitcnt vmcnt(8)
	v_mul_f64 v[62:63], v[34:35], v[115:116]
	v_fma_f64 v[23:24], v[26:27], v[109:110], -v[60:61]
	v_mul_f64 v[60:61], v[28:29], v[102:103]
	v_fma_f64 v[25:26], v[28:29], v[100:101], v[64:65]
	buffer_store_dword v100, off, s[56:59], 0 offset:168 ; 4-byte Folded Spill
	buffer_store_dword v101, off, s[56:59], 0 offset:172 ; 4-byte Folded Spill
	buffer_store_dword v102, off, s[56:59], 0 offset:176 ; 4-byte Folded Spill
	buffer_store_dword v103, off, s[56:59], 0 offset:180 ; 4-byte Folded Spill
	s_waitcnt vmcnt(6)
	v_mul_f64 v[64:65], v[38:39], v[82:83]
	v_fma_f64 v[27:28], v[30:31], v[100:101], -v[60:61]
	v_mul_f64 v[60:61], v[32:33], v[115:116]
	;; [unrolled: 9-line block ×4, first 2 shown]
	v_fma_f64 v[37:38], v[40:41], v[96:97], v[62:63]
	buffer_store_dword v96, off, s[56:59], 0 offset:152 ; 4-byte Folded Spill
	buffer_store_dword v97, off, s[56:59], 0 offset:156 ; 4-byte Folded Spill
	;; [unrolled: 1-line block ×4, first 2 shown]
	global_load_dwordx4 v[68:71], v[58:59], off offset:1856
	s_waitcnt vmcnt(1)
	v_mul_f64 v[58:59], v[48:49], v[106:107]
	v_fma_f64 v[39:40], v[42:43], v[96:97], -v[60:61]
	v_mul_f64 v[60:61], v[44:45], v[94:95]
	v_fma_f64 v[41:42], v[44:45], v[92:93], v[64:65]
	buffer_store_dword v92, off, s[56:59], 0 offset:136 ; 4-byte Folded Spill
	buffer_store_dword v93, off, s[56:59], 0 offset:140 ; 4-byte Folded Spill
	;; [unrolled: 1-line block ×4, first 2 shown]
	v_fma_f64 v[43:44], v[46:47], v[92:93], -v[60:61]
	v_mul_f64 v[45:46], v[50:51], v[106:107]
	v_add_co_u32 v60, vcc_lo, v56, s7
	v_add_co_ci_u32_e32 v61, vcc_lo, s6, v57, vcc_lo
	v_fma_f64 v[45:46], v[48:49], v[104:105], v[45:46]
	buffer_store_dword v104, off, s[56:59], 0 offset:184 ; 4-byte Folded Spill
	buffer_store_dword v105, off, s[56:59], 0 offset:188 ; 4-byte Folded Spill
	;; [unrolled: 1-line block ×4, first 2 shown]
	v_fma_f64 v[47:48], v[50:51], v[104:105], -v[58:59]
	global_load_dwordx4 v[56:59], v[60:61], off
	s_waitcnt vmcnt(0)
	v_mul_f64 v[49:50], v[58:59], v[70:71]
	v_mul_f64 v[62:63], v[56:57], v[70:71]
	v_fma_f64 v[56:57], v[56:57], v[68:69], v[49:50]
	buffer_store_dword v68, off, s[56:59], 0 offset:232 ; 4-byte Folded Spill
	buffer_store_dword v69, off, s[56:59], 0 offset:236 ; 4-byte Folded Spill
	buffer_store_dword v70, off, s[56:59], 0 offset:240 ; 4-byte Folded Spill
	buffer_store_dword v71, off, s[56:59], 0 offset:244 ; 4-byte Folded Spill
	v_add_co_u32 v49, vcc_lo, v60, s7
	v_add_co_ci_u32_e32 v50, vcc_lo, s6, v61, vcc_lo
	v_add_co_u32 v60, vcc_lo, 0x3800, v67
	v_add_co_ci_u32_e32 v61, vcc_lo, 0, v240, vcc_lo
	v_fma_f64 v[58:59], v[58:59], v[68:69], -v[62:63]
	s_clause 0x1
	global_load_dwordx4 v[70:73], v[60:61], off offset:896
	global_load_dwordx4 v[74:77], v[60:61], off offset:1984
	global_load_dwordx4 v[60:63], v[49:50], off
	v_add_co_u32 v49, vcc_lo, v49, s7
	v_add_co_ci_u32_e32 v50, vcc_lo, s6, v50, vcc_lo
	s_waitcnt vmcnt(0)
	v_mul_f64 v[64:65], v[62:63], v[72:73]
	v_mul_f64 v[68:69], v[60:61], v[72:73]
	v_fma_f64 v[60:61], v[60:61], v[70:71], v[64:65]
	buffer_store_dword v70, off, s[56:59], 0 offset:248 ; 4-byte Folded Spill
	buffer_store_dword v71, off, s[56:59], 0 offset:252 ; 4-byte Folded Spill
	;; [unrolled: 1-line block ×4, first 2 shown]
	v_fma_f64 v[62:63], v[62:63], v[70:71], -v[68:69]
	global_load_dwordx4 v[68:71], v[49:50], off
	v_add_co_u32 v49, vcc_lo, v49, s7
	v_add_co_ci_u32_e32 v50, vcc_lo, s6, v50, vcc_lo
	s_mov_b32 s6, 0x2b2883cd
	s_mov_b32 s7, 0x3fdc86fa
	s_waitcnt vmcnt(0)
	v_mul_f64 v[64:65], v[70:71], v[76:77]
	v_mul_f64 v[72:73], v[68:69], v[76:77]
	v_fma_f64 v[68:69], v[68:69], v[74:75], v[64:65]
	buffer_store_dword v74, off, s[56:59], 0 offset:264 ; 4-byte Folded Spill
	buffer_store_dword v75, off, s[56:59], 0 offset:268 ; 4-byte Folded Spill
	;; [unrolled: 1-line block ×4, first 2 shown]
	v_add_co_u32 v64, vcc_lo, 0x4000, v67
	v_add_co_ci_u32_e32 v65, vcc_lo, 0, v240, vcc_lo
	v_cmp_gt_u16_e32 vcc_lo, 34, v108
	v_fma_f64 v[70:71], v[70:71], v[74:75], -v[72:73]
	global_load_dwordx4 v[76:79], v[64:65], off offset:1024
	global_load_dwordx4 v[72:75], v[49:50], off
	s_waitcnt vmcnt(0)
	v_mul_f64 v[49:50], v[74:75], v[78:79]
	v_mul_f64 v[64:65], v[72:73], v[78:79]
	v_fma_f64 v[72:73], v[72:73], v[76:77], v[49:50]
	buffer_store_dword v76, off, s[56:59], 0 offset:280 ; 4-byte Folded Spill
	buffer_store_dword v77, off, s[56:59], 0 offset:284 ; 4-byte Folded Spill
	;; [unrolled: 1-line block ×4, first 2 shown]
	v_mov_b32_e32 v49, v66
	buffer_store_dword v49, off, s[56:59], 0 offset:16 ; 4-byte Folded Spill
	buffer_store_dword v50, off, s[56:59], 0 offset:20 ; 4-byte Folded Spill
	ds_write_b128 v20, v[0:3]
	ds_write_b128 v20, v[4:7] offset:1088
	ds_write_b128 v20, v[8:11] offset:2176
	;; [unrolled: 1-line block ×5, first 2 shown]
	s_load_dwordx4 s[8:11], s[10:11], 0x0
	v_fma_f64 v[74:75], v[74:75], v[76:77], -v[64:65]
	ds_write_b128 v20, v[21:24] offset:6528
	ds_write_b128 v20, v[25:28] offset:7616
	ds_write_b128 v20, v[29:32] offset:8704
	ds_write_b128 v20, v[33:36] offset:9792
	ds_write_b128 v20, v[37:40] offset:10880
	ds_write_b128 v20, v[41:44] offset:11968
	ds_write_b128 v20, v[45:48] offset:13056
	ds_write_b128 v20, v[56:59] offset:14144
	ds_write_b128 v20, v[60:63] offset:15232
	ds_write_b128 v20, v[68:71] offset:16320
	ds_write_b128 v20, v[72:75] offset:17408
	s_waitcnt lgkmcnt(0)
	s_waitcnt_vscnt null, 0x0
	s_barrier
	buffer_gl0_inv
	ds_read_b128 v[68:71], v20
	ds_read_b128 v[72:75], v20 offset:1088
	ds_read_b128 v[76:79], v20 offset:2176
	;; [unrolled: 1-line block ×9, first 2 shown]
	s_waitcnt lgkmcnt(8)
	v_add_f64 v[0:1], v[68:69], v[72:73]
	v_add_f64 v[2:3], v[70:71], v[74:75]
	s_waitcnt lgkmcnt(0)
	v_add_f64 v[6:7], v[100:101], v[104:105]
	v_add_f64 v[4:5], v[102:103], v[106:107]
	v_add_f64 v[12:13], v[100:101], -v[104:105]
	v_add_f64 v[27:28], v[102:103], -v[106:107]
	v_add_f64 v[0:1], v[0:1], v[76:77]
	v_add_f64 v[2:3], v[2:3], v[78:79]
	;; [unrolled: 1-line block ×16, first 2 shown]
	ds_read_b128 v[0:3], v20 offset:10880
	ds_read_b128 v[21:24], v20 offset:11968
	s_waitcnt lgkmcnt(1)
	v_add_f64 v[8:9], v[96:97], v[0:1]
	v_add_f64 v[10:11], v[98:99], v[2:3]
	v_add_f64 v[37:38], v[96:97], -v[0:1]
	v_add_f64 v[39:40], v[98:99], -v[2:3]
	v_add_f64 v[0:1], v[14:15], v[0:1]
	v_add_f64 v[2:3], v[16:17], v[2:3]
	s_waitcnt lgkmcnt(0)
	v_add_f64 v[16:17], v[94:95], v[23:24]
	v_add_f64 v[43:44], v[94:95], -v[23:24]
	v_add_f64 v[14:15], v[92:93], v[21:22]
	v_add_f64 v[41:42], v[92:93], -v[21:22]
	v_add_f64 v[25:26], v[0:1], v[21:22]
	v_add_f64 v[23:24], v[2:3], v[23:24]
	ds_read_b128 v[0:3], v20 offset:13056
	ds_read_b128 v[29:32], v20 offset:14144
	s_waitcnt lgkmcnt(1)
	v_add_f64 v[18:19], v[88:89], v[0:1]
	v_add_f64 v[21:22], v[90:91], v[2:3]
	v_add_f64 v[45:46], v[88:89], -v[0:1]
	v_add_f64 v[47:48], v[90:91], -v[2:3]
	v_add_f64 v[0:1], v[25:26], v[0:1]
	v_add_f64 v[2:3], v[23:24], v[2:3]
	s_waitcnt lgkmcnt(0)
	v_add_f64 v[23:24], v[84:85], v[29:30]
	v_add_f64 v[25:26], v[86:87], v[31:32]
	v_add_f64 v[49:50], v[84:85], -v[29:30]
	v_add_f64 v[51:52], v[86:87], -v[31:32]
	v_add_f64 v[33:34], v[0:1], v[29:30]
	v_add_f64 v[35:36], v[2:3], v[31:32]
	ds_read_b128 v[0:3], v20 offset:15232
	ds_read_b128 v[55:58], v20 offset:16320
	s_waitcnt lgkmcnt(1)
	v_add_f64 v[29:30], v[80:81], v[0:1]
	v_add_f64 v[31:32], v[82:83], v[2:3]
	v_add_f64 v[53:54], v[80:81], -v[0:1]
	v_add_f64 v[92:93], v[82:83], -v[2:3]
	v_add_f64 v[0:1], v[33:34], v[0:1]
	v_add_f64 v[2:3], v[35:36], v[2:3]
	s_waitcnt lgkmcnt(0)
	v_add_f64 v[33:34], v[76:77], v[55:56]
	v_add_f64 v[35:36], v[78:79], v[57:58]
	v_add_f64 v[94:95], v[76:77], -v[55:56]
	v_add_f64 v[96:97], v[78:79], -v[57:58]
	v_add_f64 v[55:56], v[0:1], v[55:56]
	v_add_f64 v[57:58], v[2:3], v[57:58]
	ds_read_b128 v[0:3], v20 offset:17408
	s_waitcnt lgkmcnt(0)
	s_barrier
	buffer_gl0_inv
	v_add_f64 v[65:66], v[74:75], -v[2:3]
	v_add_f64 v[59:60], v[72:73], v[0:1]
	v_add_f64 v[61:62], v[74:75], v[2:3]
	v_add_f64 v[63:64], v[72:73], -v[0:1]
	v_add_f64 v[72:73], v[55:56], v[0:1]
	v_add_f64 v[74:75], v[57:58], v[2:3]
	v_mul_f64 v[0:1], v[65:66], s[30:31]
	v_mul_f64 v[2:3], v[65:66], s[38:39]
	;; [unrolled: 1-line block ×13, first 2 shown]
	v_fma_f64 v[82:83], v[59:60], s[16:17], -v[0:1]
	v_fma_f64 v[0:1], v[59:60], s[16:17], v[0:1]
	v_fma_f64 v[84:85], v[59:60], s[12:13], -v[2:3]
	v_fma_f64 v[2:3], v[59:60], s[12:13], v[2:3]
	;; [unrolled: 2-line block ×3, first 2 shown]
	v_fma_f64 v[86:87], v[59:60], s[6:7], -v[55:56]
	v_fma_f64 v[106:107], v[59:60], s[28:29], -v[65:66]
	v_fma_f64 v[109:110], v[59:60], s[28:29], v[65:66]
	v_mul_f64 v[65:66], v[63:64], s[38:39]
	v_fma_f64 v[55:56], v[59:60], s[6:7], v[55:56]
	v_fma_f64 v[88:89], v[59:60], s[0:1], -v[57:58]
	v_fma_f64 v[57:58], v[59:60], s[0:1], v[57:58]
	v_fma_f64 v[98:99], v[59:60], s[18:19], -v[78:79]
	;; [unrolled: 2-line block ×3, first 2 shown]
	v_fma_f64 v[80:81], v[59:60], s[20:21], v[80:81]
	v_mul_f64 v[59:60], v[63:64], s[30:31]
	v_mul_f64 v[63:64], v[63:64], s[34:35]
	v_fma_f64 v[123:124], v[61:62], s[0:1], v[104:105]
	v_fma_f64 v[104:105], v[61:62], s[0:1], -v[104:105]
	v_fma_f64 v[121:122], v[61:62], s[6:7], v[102:103]
	v_fma_f64 v[102:103], v[61:62], s[6:7], -v[102:103]
	;; [unrolled: 2-line block ×4, first 2 shown]
	v_add_f64 v[153:154], v[68:69], v[76:77]
	v_mul_f64 v[76:77], v[96:97], s[38:39]
	v_fma_f64 v[129:130], v[61:62], s[20:21], v[115:116]
	v_fma_f64 v[115:116], v[61:62], s[20:21], -v[115:116]
	v_fma_f64 v[119:120], v[61:62], s[12:13], v[65:66]
	v_fma_f64 v[65:66], v[61:62], s[12:13], -v[65:66]
	v_add_f64 v[82:83], v[68:69], v[82:83]
	v_add_f64 v[0:1], v[68:69], v[0:1]
	;; [unrolled: 1-line block ×6, first 2 shown]
	v_fma_f64 v[117:118], v[61:62], s[16:17], v[59:60]
	v_fma_f64 v[59:60], v[61:62], s[16:17], -v[59:60]
	v_fma_f64 v[131:132], v[61:62], s[28:29], v[63:64]
	v_fma_f64 v[133:134], v[61:62], s[28:29], -v[63:64]
	v_add_f64 v[145:146], v[68:69], v[88:89]
	v_add_f64 v[147:148], v[68:69], v[57:58]
	;; [unrolled: 1-line block ×9, first 2 shown]
	v_mul_f64 v[80:81], v[92:93], s[44:45]
	v_mul_f64 v[78:79], v[94:95], s[38:39]
	v_add_f64 v[137:138], v[70:71], v[65:66]
	v_add_f64 v[65:66], v[68:69], v[100:101]
	v_fma_f64 v[68:69], v[33:34], s[12:13], -v[76:77]
	v_add_f64 v[119:120], v[70:71], v[119:120]
	v_add_f64 v[121:122], v[70:71], v[121:122]
	;; [unrolled: 1-line block ×14, first 2 shown]
	v_fma_f64 v[76:77], v[33:34], s[12:13], v[76:77]
	v_fma_f64 v[70:71], v[35:36], s[12:13], v[78:79]
	v_add_f64 v[68:69], v[68:69], v[82:83]
	v_fma_f64 v[82:83], v[29:30], s[6:7], -v[80:81]
	v_add_f64 v[0:1], v[76:77], v[0:1]
	v_fma_f64 v[76:77], v[35:36], s[12:13], -v[78:79]
	v_fma_f64 v[78:79], v[29:30], s[6:7], v[80:81]
	v_add_f64 v[70:71], v[70:71], v[117:118]
	v_add_f64 v[68:69], v[82:83], v[68:69]
	v_mul_f64 v[82:83], v[53:54], s[44:45]
	v_add_f64 v[76:77], v[76:77], v[135:136]
	v_add_f64 v[0:1], v[78:79], v[0:1]
	v_fma_f64 v[86:87], v[31:32], s[6:7], v[82:83]
	v_fma_f64 v[78:79], v[31:32], s[6:7], -v[82:83]
	v_mul_f64 v[82:83], v[94:95], s[36:37]
	v_add_f64 v[70:71], v[86:87], v[70:71]
	v_mul_f64 v[86:87], v[51:52], s[36:37]
	v_add_f64 v[76:77], v[78:79], v[76:77]
	v_fma_f64 v[88:89], v[23:24], s[0:1], -v[86:87]
	v_fma_f64 v[78:79], v[23:24], s[0:1], v[86:87]
	v_add_f64 v[68:69], v[88:89], v[68:69]
	v_mul_f64 v[88:89], v[49:50], s[36:37]
	v_add_f64 v[0:1], v[78:79], v[0:1]
	v_fma_f64 v[90:91], v[25:26], s[0:1], v[88:89]
	v_fma_f64 v[78:79], v[25:26], s[0:1], -v[88:89]
	v_mul_f64 v[88:89], v[92:93], s[24:25]
	v_add_f64 v[70:71], v[90:91], v[70:71]
	v_mul_f64 v[90:91], v[47:48], s[22:23]
	v_add_f64 v[76:77], v[78:79], v[76:77]
	v_fma_f64 v[86:87], v[29:30], s[18:19], -v[88:89]
	v_fma_f64 v[106:107], v[18:19], s[14:15], -v[90:91]
	v_fma_f64 v[78:79], v[18:19], s[14:15], v[90:91]
	v_mul_f64 v[90:91], v[53:54], s[24:25]
	v_add_f64 v[68:69], v[106:107], v[68:69]
	v_mul_f64 v[106:107], v[45:46], s[22:23]
	v_add_f64 v[0:1], v[78:79], v[0:1]
	v_fma_f64 v[109:110], v[21:22], s[14:15], v[106:107]
	v_fma_f64 v[78:79], v[21:22], s[14:15], -v[106:107]
	v_mul_f64 v[106:107], v[51:52], s[34:35]
	v_add_f64 v[70:71], v[109:110], v[70:71]
	v_mul_f64 v[109:110], v[43:44], s[24:25]
	v_add_f64 v[76:77], v[78:79], v[76:77]
	v_fma_f64 v[111:112], v[14:15], s[18:19], -v[109:110]
	v_fma_f64 v[78:79], v[14:15], s[18:19], v[109:110]
	v_mul_f64 v[109:110], v[49:50], s[34:35]
	v_add_f64 v[68:69], v[111:112], v[68:69]
	v_mul_f64 v[111:112], v[41:42], s[24:25]
	v_add_f64 v[0:1], v[78:79], v[0:1]
	v_fma_f64 v[113:114], v[16:17], s[18:19], v[111:112]
	v_fma_f64 v[78:79], v[16:17], s[18:19], -v[111:112]
	v_mul_f64 v[111:112], v[47:48], s[50:51]
	v_add_f64 v[70:71], v[113:114], v[70:71]
	v_mul_f64 v[113:114], v[39:40], s[26:27]
	v_add_f64 v[76:77], v[78:79], v[76:77]
	;; [unrolled: 12-line block ×3, first 2 shown]
	v_fma_f64 v[129:130], v[6:7], s[28:29], -v[117:118]
	v_fma_f64 v[76:77], v[6:7], s[28:29], v[117:118]
	v_mul_f64 v[117:118], v[41:42], s[48:49]
	v_add_f64 v[68:69], v[129:130], v[68:69]
	v_mul_f64 v[129:130], v[12:13], s[34:35]
	v_add_f64 v[76:77], v[76:77], v[0:1]
	v_mul_f64 v[0:1], v[96:97], s[36:37]
	v_fma_f64 v[80:81], v[4:5], s[28:29], -v[129:130]
	v_fma_f64 v[131:132], v[4:5], s[28:29], v[129:130]
	v_mul_f64 v[129:130], v[37:38], s[40:41]
	v_add_f64 v[78:79], v[80:81], v[78:79]
	v_fma_f64 v[80:81], v[33:34], s[0:1], -v[0:1]
	v_fma_f64 v[0:1], v[33:34], s[0:1], v[0:1]
	v_add_f64 v[70:71], v[131:132], v[70:71]
	v_mul_f64 v[131:132], v[27:28], s[42:43]
	v_add_f64 v[80:81], v[80:81], v[84:85]
	v_fma_f64 v[84:85], v[35:36], s[0:1], v[82:83]
	v_add_f64 v[0:1], v[0:1], v[2:3]
	v_fma_f64 v[2:3], v[35:36], s[0:1], -v[82:83]
	v_fma_f64 v[82:83], v[29:30], s[18:19], v[88:89]
	v_add_f64 v[80:81], v[86:87], v[80:81]
	v_add_f64 v[84:85], v[84:85], v[119:120]
	v_fma_f64 v[86:87], v[31:32], s[18:19], v[90:91]
	v_add_f64 v[2:3], v[2:3], v[137:138]
	v_add_f64 v[0:1], v[82:83], v[0:1]
	v_fma_f64 v[82:83], v[31:32], s[18:19], -v[90:91]
	v_mul_f64 v[119:120], v[39:40], s[40:41]
	v_mul_f64 v[90:91], v[94:95], s[24:25]
	v_add_f64 v[84:85], v[86:87], v[84:85]
	v_fma_f64 v[86:87], v[23:24], s[28:29], -v[106:107]
	v_add_f64 v[2:3], v[82:83], v[2:3]
	v_fma_f64 v[82:83], v[23:24], s[28:29], v[106:107]
	v_mul_f64 v[106:107], v[92:93], s[46:47]
	v_add_f64 v[80:81], v[86:87], v[80:81]
	v_fma_f64 v[86:87], v[25:26], s[28:29], v[109:110]
	v_add_f64 v[0:1], v[82:83], v[0:1]
	v_fma_f64 v[82:83], v[25:26], s[28:29], -v[109:110]
	v_fma_f64 v[109:110], v[29:30], s[28:29], -v[106:107]
	v_fma_f64 v[106:107], v[29:30], s[28:29], v[106:107]
	v_add_f64 v[84:85], v[86:87], v[84:85]
	v_fma_f64 v[86:87], v[18:19], s[20:21], -v[111:112]
	v_add_f64 v[2:3], v[82:83], v[2:3]
	v_fma_f64 v[82:83], v[18:19], s[20:21], v[111:112]
	v_add_f64 v[80:81], v[86:87], v[80:81]
	v_fma_f64 v[86:87], v[21:22], s[20:21], v[113:114]
	v_add_f64 v[0:1], v[82:83], v[0:1]
	v_fma_f64 v[82:83], v[21:22], s[20:21], -v[113:114]
	v_add_f64 v[84:85], v[86:87], v[84:85]
	v_fma_f64 v[86:87], v[14:15], s[14:15], -v[115:116]
	v_add_f64 v[2:3], v[82:83], v[2:3]
	v_fma_f64 v[82:83], v[14:15], s[14:15], v[115:116]
	v_add_f64 v[80:81], v[86:87], v[80:81]
	v_fma_f64 v[86:87], v[16:17], s[14:15], v[117:118]
	v_add_f64 v[0:1], v[82:83], v[0:1]
	v_fma_f64 v[82:83], v[16:17], s[14:15], -v[117:118]
	;; [unrolled: 8-line block ×3, first 2 shown]
	v_add_f64 v[86:87], v[86:87], v[84:85]
	v_fma_f64 v[84:85], v[6:7], s[16:17], -v[131:132]
	v_add_f64 v[2:3], v[82:83], v[2:3]
	v_fma_f64 v[82:83], v[6:7], s[16:17], v[131:132]
	v_add_f64 v[84:85], v[84:85], v[80:81]
	v_mul_f64 v[80:81], v[12:13], s[42:43]
	v_fma_f64 v[88:89], v[4:5], s[16:17], -v[80:81]
	v_fma_f64 v[133:134], v[4:5], s[16:17], v[80:81]
	v_add_f64 v[80:81], v[82:83], v[0:1]
	v_add_f64 v[82:83], v[88:89], v[2:3]
	v_mul_f64 v[88:89], v[96:97], s[24:25]
	v_fma_f64 v[2:3], v[35:36], s[18:19], v[90:91]
	v_fma_f64 v[90:91], v[35:36], s[18:19], -v[90:91]
	v_add_f64 v[86:87], v[133:134], v[86:87]
	v_fma_f64 v[0:1], v[33:34], s[18:19], -v[88:89]
	v_add_f64 v[2:3], v[2:3], v[121:122]
	v_fma_f64 v[88:89], v[33:34], s[18:19], v[88:89]
	v_add_f64 v[90:91], v[90:91], v[143:144]
	v_add_f64 v[0:1], v[0:1], v[139:140]
	;; [unrolled: 1-line block ×4, first 2 shown]
	v_mul_f64 v[109:110], v[53:54], s[46:47]
	s_mov_b32 s47, 0x3fe58eea
	s_mov_b32 s46, s38
	v_add_f64 v[88:89], v[106:107], v[88:89]
	v_fma_f64 v[111:112], v[31:32], s[28:29], v[109:110]
	v_fma_f64 v[106:107], v[31:32], s[28:29], -v[109:110]
	v_add_f64 v[2:3], v[111:112], v[2:3]
	v_mul_f64 v[111:112], v[51:52], s[48:49]
	v_add_f64 v[90:91], v[106:107], v[90:91]
	v_fma_f64 v[113:114], v[23:24], s[14:15], -v[111:112]
	v_fma_f64 v[106:107], v[23:24], s[14:15], v[111:112]
	v_add_f64 v[0:1], v[113:114], v[0:1]
	v_mul_f64 v[113:114], v[49:50], s[48:49]
	v_add_f64 v[88:89], v[106:107], v[88:89]
	v_fma_f64 v[115:116], v[25:26], s[14:15], v[113:114]
	v_fma_f64 v[106:107], v[25:26], s[14:15], -v[113:114]
	v_mul_f64 v[113:114], v[94:95], s[34:35]
	v_add_f64 v[2:3], v[115:116], v[2:3]
	v_mul_f64 v[115:116], v[47:48], s[46:47]
	v_add_f64 v[90:91], v[106:107], v[90:91]
	v_fma_f64 v[111:112], v[35:36], s[28:29], v[113:114]
	v_fma_f64 v[113:114], v[35:36], s[28:29], -v[113:114]
	v_fma_f64 v[117:118], v[18:19], s[12:13], -v[115:116]
	v_fma_f64 v[106:107], v[18:19], s[12:13], v[115:116]
	v_mul_f64 v[115:116], v[92:93], s[48:49]
	v_add_f64 v[111:112], v[111:112], v[123:124]
	v_add_f64 v[113:114], v[113:114], v[149:150]
	;; [unrolled: 1-line block ×3, first 2 shown]
	v_mul_f64 v[117:118], v[45:46], s[46:47]
	v_add_f64 v[88:89], v[106:107], v[88:89]
	v_fma_f64 v[119:120], v[21:22], s[12:13], v[117:118]
	v_fma_f64 v[106:107], v[21:22], s[12:13], -v[117:118]
	v_fma_f64 v[117:118], v[29:30], s[14:15], -v[115:116]
	v_fma_f64 v[115:116], v[29:30], s[14:15], v[115:116]
	v_add_f64 v[2:3], v[119:120], v[2:3]
	v_mul_f64 v[119:120], v[43:44], s[30:31]
	v_add_f64 v[90:91], v[106:107], v[90:91]
	v_fma_f64 v[121:122], v[14:15], s[16:17], -v[119:120]
	v_fma_f64 v[106:107], v[14:15], s[16:17], v[119:120]
	v_add_f64 v[0:1], v[121:122], v[0:1]
	v_mul_f64 v[121:122], v[41:42], s[30:31]
	v_add_f64 v[88:89], v[106:107], v[88:89]
	v_fma_f64 v[129:130], v[16:17], s[16:17], v[121:122]
	v_fma_f64 v[106:107], v[16:17], s[16:17], -v[121:122]
	v_add_f64 v[2:3], v[129:130], v[2:3]
	v_mul_f64 v[129:130], v[39:40], s[36:37]
	v_add_f64 v[90:91], v[106:107], v[90:91]
	v_fma_f64 v[131:132], v[8:9], s[0:1], -v[129:130]
	v_fma_f64 v[106:107], v[8:9], s[0:1], v[129:130]
	v_add_f64 v[0:1], v[131:132], v[0:1]
	v_mul_f64 v[131:132], v[37:38], s[36:37]
	v_add_f64 v[88:89], v[106:107], v[88:89]
	v_fma_f64 v[133:134], v[10:11], s[0:1], v[131:132]
	v_fma_f64 v[106:107], v[10:11], s[0:1], -v[131:132]
	v_add_f64 v[2:3], v[133:134], v[2:3]
	v_mul_f64 v[133:134], v[27:28], s[26:27]
	v_add_f64 v[90:91], v[106:107], v[90:91]
	v_fma_f64 v[135:136], v[6:7], s[20:21], -v[133:134]
	v_fma_f64 v[106:107], v[6:7], s[20:21], v[133:134]
	v_add_f64 v[0:1], v[135:136], v[0:1]
	v_mul_f64 v[135:136], v[12:13], s[26:27]
	v_add_f64 v[88:89], v[106:107], v[88:89]
	v_mul_f64 v[106:107], v[96:97], s[34:35]
	v_fma_f64 v[109:110], v[4:5], s[20:21], -v[135:136]
	v_fma_f64 v[137:138], v[4:5], s[20:21], v[135:136]
	v_add_f64 v[90:91], v[109:110], v[90:91]
	v_fma_f64 v[109:110], v[33:34], s[28:29], -v[106:107]
	v_fma_f64 v[106:107], v[33:34], s[28:29], v[106:107]
	v_add_f64 v[2:3], v[137:138], v[2:3]
	v_add_f64 v[109:110], v[109:110], v[145:146]
	;; [unrolled: 1-line block ×4, first 2 shown]
	v_mul_f64 v[117:118], v[53:54], s[48:49]
	v_add_f64 v[106:107], v[115:116], v[106:107]
	v_fma_f64 v[119:120], v[31:32], s[14:15], v[117:118]
	v_fma_f64 v[115:116], v[31:32], s[14:15], -v[117:118]
	v_add_f64 v[111:112], v[119:120], v[111:112]
	v_mul_f64 v[119:120], v[51:52], s[42:43]
	v_add_f64 v[113:114], v[115:116], v[113:114]
	v_fma_f64 v[121:122], v[23:24], s[16:17], -v[119:120]
	v_fma_f64 v[115:116], v[23:24], s[16:17], v[119:120]
	v_add_f64 v[109:110], v[121:122], v[109:110]
	v_mul_f64 v[121:122], v[49:50], s[42:43]
	v_add_f64 v[106:107], v[115:116], v[106:107]
	v_fma_f64 v[123:124], v[25:26], s[16:17], v[121:122]
	v_fma_f64 v[115:116], v[25:26], s[16:17], -v[121:122]
	v_mul_f64 v[121:122], v[94:95], s[50:51]
	v_add_f64 v[111:112], v[123:124], v[111:112]
	v_mul_f64 v[123:124], v[47:48], s[44:45]
	v_add_f64 v[113:114], v[115:116], v[113:114]
	v_fma_f64 v[119:120], v[35:36], s[20:21], v[121:122]
	v_fma_f64 v[121:122], v[35:36], s[20:21], -v[121:122]
	v_fma_f64 v[129:130], v[18:19], s[6:7], -v[123:124]
	v_fma_f64 v[115:116], v[18:19], s[6:7], v[123:124]
	v_mul_f64 v[123:124], v[92:93], s[46:47]
	v_add_f64 v[119:120], v[119:120], v[125:126]
	v_add_f64 v[121:122], v[121:122], v[155:156]
	;; [unrolled: 1-line block ×3, first 2 shown]
	v_mul_f64 v[129:130], v[45:46], s[44:45]
	v_add_f64 v[106:107], v[115:116], v[106:107]
	v_fma_f64 v[125:126], v[29:30], s[12:13], -v[123:124]
	v_fma_f64 v[123:124], v[29:30], s[12:13], v[123:124]
	v_fma_f64 v[131:132], v[21:22], s[6:7], v[129:130]
	v_fma_f64 v[115:116], v[21:22], s[6:7], -v[129:130]
	v_add_f64 v[111:112], v[131:132], v[111:112]
	v_mul_f64 v[131:132], v[43:44], s[26:27]
	v_add_f64 v[113:114], v[115:116], v[113:114]
	v_fma_f64 v[133:134], v[14:15], s[20:21], -v[131:132]
	v_fma_f64 v[115:116], v[14:15], s[20:21], v[131:132]
	v_add_f64 v[109:110], v[133:134], v[109:110]
	v_mul_f64 v[133:134], v[41:42], s[26:27]
	v_add_f64 v[106:107], v[115:116], v[106:107]
	v_fma_f64 v[135:136], v[16:17], s[20:21], v[133:134]
	v_fma_f64 v[115:116], v[16:17], s[20:21], -v[133:134]
	v_add_f64 v[111:112], v[135:136], v[111:112]
	v_mul_f64 v[135:136], v[39:40], s[52:53]
	v_add_f64 v[113:114], v[115:116], v[113:114]
	v_fma_f64 v[137:138], v[8:9], s[18:19], -v[135:136]
	v_fma_f64 v[115:116], v[8:9], s[18:19], v[135:136]
	v_add_f64 v[109:110], v[137:138], v[109:110]
	v_mul_f64 v[137:138], v[37:38], s[52:53]
	v_add_f64 v[106:107], v[115:116], v[106:107]
	v_fma_f64 v[139:140], v[10:11], s[18:19], v[137:138]
	v_fma_f64 v[115:116], v[10:11], s[18:19], -v[137:138]
	v_add_f64 v[111:112], v[139:140], v[111:112]
	v_mul_f64 v[139:140], v[27:28], s[46:47]
	v_add_f64 v[115:116], v[115:116], v[113:114]
	v_fma_f64 v[141:142], v[6:7], s[12:13], -v[139:140]
	v_fma_f64 v[113:114], v[6:7], s[12:13], v[139:140]
	v_add_f64 v[109:110], v[141:142], v[109:110]
	v_mul_f64 v[141:142], v[12:13], s[46:47]
	v_add_f64 v[113:114], v[113:114], v[106:107]
	v_mul_f64 v[106:107], v[96:97], s[50:51]
	v_fma_f64 v[117:118], v[4:5], s[12:13], -v[141:142]
	v_fma_f64 v[143:144], v[4:5], s[12:13], v[141:142]
	v_add_f64 v[115:116], v[117:118], v[115:116]
	v_fma_f64 v[117:118], v[33:34], s[20:21], -v[106:107]
	v_fma_f64 v[106:107], v[33:34], s[20:21], v[106:107]
	v_add_f64 v[111:112], v[143:144], v[111:112]
	v_add_f64 v[117:118], v[117:118], v[151:152]
	v_add_f64 v[106:107], v[106:107], v[153:154]
	v_add_f64 v[117:118], v[125:126], v[117:118]
	v_mul_f64 v[125:126], v[53:54], s[46:47]
	v_add_f64 v[106:107], v[123:124], v[106:107]
	v_fma_f64 v[129:130], v[31:32], s[12:13], v[125:126]
	v_fma_f64 v[123:124], v[31:32], s[12:13], -v[125:126]
	v_add_f64 v[119:120], v[129:130], v[119:120]
	v_mul_f64 v[129:130], v[51:52], s[44:45]
	v_add_f64 v[121:122], v[123:124], v[121:122]
	v_fma_f64 v[131:132], v[23:24], s[6:7], -v[129:130]
	v_fma_f64 v[123:124], v[23:24], s[6:7], v[129:130]
	v_mul_f64 v[129:130], v[94:95], s[48:49]
	v_add_f64 v[117:118], v[131:132], v[117:118]
	v_mul_f64 v[131:132], v[49:50], s[44:45]
	s_mov_b32 s45, 0x3fefdd0d
	s_mov_b32 s44, s36
	v_add_f64 v[106:107], v[123:124], v[106:107]
	v_fma_f64 v[133:134], v[25:26], s[6:7], v[131:132]
	v_fma_f64 v[123:124], v[25:26], s[6:7], -v[131:132]
	v_fma_f64 v[131:132], v[35:36], s[14:15], v[129:130]
	v_add_f64 v[119:120], v[133:134], v[119:120]
	v_mul_f64 v[133:134], v[47:48], s[34:35]
	v_add_f64 v[121:122], v[123:124], v[121:122]
	v_add_f64 v[127:128], v[131:132], v[127:128]
	v_mul_f64 v[131:132], v[92:93], s[30:31]
	v_fma_f64 v[135:136], v[18:19], s[28:29], -v[133:134]
	v_fma_f64 v[123:124], v[18:19], s[28:29], v[133:134]
	v_fma_f64 v[133:134], v[29:30], s[16:17], -v[131:132]
	v_add_f64 v[117:118], v[135:136], v[117:118]
	v_mul_f64 v[135:136], v[45:46], s[34:35]
	v_add_f64 v[106:107], v[123:124], v[106:107]
	v_fma_f64 v[137:138], v[21:22], s[28:29], v[135:136]
	v_fma_f64 v[123:124], v[21:22], s[28:29], -v[135:136]
	v_add_f64 v[119:120], v[137:138], v[119:120]
	v_mul_f64 v[137:138], v[43:44], s[44:45]
	v_add_f64 v[121:122], v[123:124], v[121:122]
	v_fma_f64 v[139:140], v[14:15], s[0:1], -v[137:138]
	v_fma_f64 v[123:124], v[14:15], s[0:1], v[137:138]
	v_add_f64 v[117:118], v[139:140], v[117:118]
	v_mul_f64 v[139:140], v[41:42], s[44:45]
	v_add_f64 v[106:107], v[123:124], v[106:107]
	v_fma_f64 v[141:142], v[16:17], s[0:1], v[139:140]
	v_fma_f64 v[123:124], v[16:17], s[0:1], -v[139:140]
	v_add_f64 v[119:120], v[141:142], v[119:120]
	v_mul_f64 v[141:142], v[39:40], s[30:31]
	v_add_f64 v[121:122], v[123:124], v[121:122]
	v_fma_f64 v[143:144], v[8:9], s[16:17], -v[141:142]
	v_fma_f64 v[123:124], v[8:9], s[16:17], v[141:142]
	;; [unrolled: 10-line block ×3, first 2 shown]
	v_add_f64 v[117:118], v[147:148], v[117:118]
	v_mul_f64 v[147:148], v[12:13], s[24:25]
	v_add_f64 v[121:122], v[121:122], v[106:107]
	v_mul_f64 v[106:107], v[96:97], s[48:49]
	v_fma_f64 v[125:126], v[4:5], s[18:19], -v[147:148]
	v_fma_f64 v[149:150], v[4:5], s[18:19], v[147:148]
	v_add_f64 v[123:124], v[125:126], v[123:124]
	v_fma_f64 v[125:126], v[33:34], s[14:15], -v[106:107]
	v_fma_f64 v[106:107], v[33:34], s[14:15], v[106:107]
	v_add_f64 v[119:120], v[149:150], v[119:120]
	v_add_f64 v[125:126], v[125:126], v[157:158]
	v_add_f64 v[104:105], v[106:107], v[104:105]
	v_fma_f64 v[106:107], v[35:36], s[14:15], -v[129:130]
	v_add_f64 v[125:126], v[133:134], v[125:126]
	v_mul_f64 v[133:134], v[53:54], s[30:31]
	v_add_f64 v[102:103], v[106:107], v[102:103]
	v_fma_f64 v[106:107], v[29:30], s[16:17], v[131:132]
	v_fma_f64 v[135:136], v[31:32], s[16:17], v[133:134]
	v_add_f64 v[104:105], v[106:107], v[104:105]
	v_fma_f64 v[106:107], v[31:32], s[16:17], -v[133:134]
	v_add_f64 v[127:128], v[135:136], v[127:128]
	v_mul_f64 v[135:136], v[51:52], s[26:27]
	v_add_f64 v[102:103], v[106:107], v[102:103]
	v_fma_f64 v[137:138], v[23:24], s[20:21], -v[135:136]
	v_fma_f64 v[106:107], v[23:24], s[20:21], v[135:136]
	v_add_f64 v[125:126], v[137:138], v[125:126]
	v_mul_f64 v[137:138], v[49:50], s[26:27]
	v_add_f64 v[104:105], v[106:107], v[104:105]
	v_fma_f64 v[139:140], v[25:26], s[20:21], v[137:138]
	v_fma_f64 v[106:107], v[25:26], s[20:21], -v[137:138]
	v_add_f64 v[127:128], v[139:140], v[127:128]
	v_mul_f64 v[139:140], v[47:48], s[44:45]
	v_add_f64 v[102:103], v[106:107], v[102:103]
	v_fma_f64 v[141:142], v[18:19], s[0:1], -v[139:140]
	v_fma_f64 v[106:107], v[18:19], s[0:1], v[139:140]
	v_add_f64 v[125:126], v[141:142], v[125:126]
	v_mul_f64 v[141:142], v[45:46], s[44:45]
	v_add_f64 v[104:105], v[106:107], v[104:105]
	v_fma_f64 v[143:144], v[21:22], s[0:1], v[141:142]
	;; [unrolled: 10-line block ×4, first 2 shown]
	v_fma_f64 v[106:107], v[10:11], s[28:29], -v[149:150]
	v_add_f64 v[127:128], v[151:152], v[127:128]
	v_mul_f64 v[151:152], v[27:28], s[40:41]
	v_add_f64 v[106:107], v[106:107], v[102:103]
	v_fma_f64 v[153:154], v[6:7], s[6:7], -v[151:152]
	v_fma_f64 v[102:103], v[6:7], s[6:7], v[151:152]
	v_add_f64 v[125:126], v[153:154], v[125:126]
	v_mul_f64 v[153:154], v[12:13], s[40:41]
	v_add_f64 v[102:103], v[102:103], v[104:105]
	v_fma_f64 v[129:130], v[4:5], s[6:7], -v[153:154]
	v_fma_f64 v[155:156], v[4:5], s[6:7], v[153:154]
	v_mul_f64 v[153:154], v[27:28], s[22:23]
	v_mul_f64 v[27:28], v[27:28], s[44:45]
	v_add_f64 v[104:105], v[129:130], v[106:107]
	v_mul_f64 v[106:107], v[96:97], s[40:41]
	v_add_f64 v[127:128], v[155:156], v[127:128]
	v_mul_f64 v[155:156], v[12:13], s[22:23]
	v_mul_f64 v[96:97], v[96:97], s[42:43]
	;; [unrolled: 1-line block ×3, first 2 shown]
	v_fma_f64 v[129:130], v[33:34], s[6:7], -v[106:107]
	v_fma_f64 v[106:107], v[33:34], s[6:7], v[106:107]
	v_add_f64 v[65:66], v[129:130], v[65:66]
	v_mul_f64 v[129:130], v[94:95], s[40:41]
	v_add_f64 v[61:62], v[106:107], v[61:62]
	v_mul_f64 v[94:95], v[94:95], s[42:43]
	v_fma_f64 v[131:132], v[35:36], s[6:7], v[129:130]
	v_fma_f64 v[106:107], v[35:36], s[6:7], -v[129:130]
	v_fma_f64 v[129:130], v[4:5], s[14:15], -v[155:156]
	v_add_f64 v[63:64], v[131:132], v[63:64]
	v_mul_f64 v[131:132], v[92:93], s[36:37]
	v_add_f64 v[59:60], v[106:107], v[59:60]
	v_mul_f64 v[92:93], v[92:93], s[26:27]
	v_fma_f64 v[133:134], v[29:30], s[0:1], -v[131:132]
	v_fma_f64 v[106:107], v[29:30], s[0:1], v[131:132]
	v_add_f64 v[65:66], v[133:134], v[65:66]
	v_mul_f64 v[133:134], v[53:54], s[36:37]
	v_add_f64 v[61:62], v[106:107], v[61:62]
	v_mul_f64 v[53:54], v[53:54], s[26:27]
	v_fma_f64 v[135:136], v[31:32], s[0:1], v[133:134]
	v_fma_f64 v[106:107], v[31:32], s[0:1], -v[133:134]
	v_add_f64 v[63:64], v[135:136], v[63:64]
	v_mul_f64 v[135:136], v[51:52], s[52:53]
	v_add_f64 v[59:60], v[106:107], v[59:60]
	v_mul_f64 v[51:52], v[51:52], s[46:47]
	v_fma_f64 v[137:138], v[23:24], s[18:19], -v[135:136]
	v_fma_f64 v[106:107], v[23:24], s[18:19], v[135:136]
	v_add_f64 v[65:66], v[137:138], v[65:66]
	v_mul_f64 v[137:138], v[49:50], s[52:53]
	v_add_f64 v[61:62], v[106:107], v[61:62]
	v_mul_f64 v[49:50], v[49:50], s[46:47]
	v_fma_f64 v[139:140], v[25:26], s[18:19], v[137:138]
	;; [unrolled: 12-line block ×4, first 2 shown]
	v_fma_f64 v[106:107], v[16:17], s[28:29], -v[145:146]
	v_add_f64 v[63:64], v[147:148], v[63:64]
	v_mul_f64 v[147:148], v[39:40], s[46:47]
	v_add_f64 v[59:60], v[106:107], v[59:60]
	v_fma_f64 v[149:150], v[8:9], s[12:13], -v[147:148]
	v_fma_f64 v[106:107], v[8:9], s[12:13], v[147:148]
	v_add_f64 v[65:66], v[149:150], v[65:66]
	v_mul_f64 v[149:150], v[37:38], s[46:47]
	v_add_f64 v[61:62], v[106:107], v[61:62]
	v_fma_f64 v[106:107], v[10:11], s[12:13], -v[149:150]
	v_fma_f64 v[151:152], v[10:11], s[12:13], v[149:150]
	v_add_f64 v[106:107], v[106:107], v[59:60]
	v_fma_f64 v[59:60], v[6:7], s[14:15], v[153:154]
	v_add_f64 v[151:152], v[151:152], v[63:64]
	v_fma_f64 v[63:64], v[6:7], s[14:15], -v[153:154]
	v_add_f64 v[59:60], v[59:60], v[61:62]
	v_add_f64 v[61:62], v[129:130], v[106:107]
	v_fma_f64 v[106:107], v[33:34], s[16:17], -v[96:97]
	v_fma_f64 v[33:34], v[33:34], s[16:17], v[96:97]
	v_add_f64 v[63:64], v[63:64], v[65:66]
	v_fma_f64 v[65:66], v[4:5], s[14:15], v[155:156]
	v_add_f64 v[57:58], v[106:107], v[57:58]
	v_fma_f64 v[106:107], v[35:36], s[16:17], v[94:95]
	v_fma_f64 v[35:36], v[35:36], s[16:17], -v[94:95]
	v_add_f64 v[33:34], v[33:34], v[98:99]
	v_add_f64 v[65:66], v[65:66], v[151:152]
	;; [unrolled: 1-line block ×3, first 2 shown]
	v_fma_f64 v[106:107], v[29:30], s[20:21], -v[92:93]
	v_fma_f64 v[29:30], v[29:30], s[20:21], v[92:93]
	v_add_f64 v[35:36], v[35:36], v[100:101]
	v_add_f64 v[57:58], v[106:107], v[57:58]
	v_fma_f64 v[106:107], v[31:32], s[20:21], v[53:54]
	v_fma_f64 v[31:32], v[31:32], s[20:21], -v[53:54]
	v_add_f64 v[29:30], v[29:30], v[33:34]
	v_add_f64 v[55:56], v[106:107], v[55:56]
	v_fma_f64 v[106:107], v[23:24], s[12:13], -v[51:52]
	v_fma_f64 v[23:24], v[23:24], s[12:13], v[51:52]
	v_add_f64 v[31:32], v[31:32], v[35:36]
	v_add_f64 v[57:58], v[106:107], v[57:58]
	v_fma_f64 v[106:107], v[25:26], s[12:13], v[49:50]
	v_fma_f64 v[25:26], v[25:26], s[12:13], -v[49:50]
	v_add_f64 v[23:24], v[23:24], v[29:30]
	v_add_f64 v[55:56], v[106:107], v[55:56]
	;; [unrolled: 8-line block ×4, first 2 shown]
	v_mul_f64 v[106:107], v[39:40], s[22:23]
	v_add_f64 v[16:17], v[16:17], v[21:22]
	v_fma_f64 v[39:40], v[8:9], s[14:15], -v[106:107]
	v_fma_f64 v[8:9], v[8:9], s[14:15], v[106:107]
	v_add_f64 v[39:40], v[39:40], v[57:58]
	v_mul_f64 v[57:58], v[37:38], s[22:23]
	v_add_f64 v[8:9], v[8:9], v[14:15]
	v_fma_f64 v[37:38], v[10:11], s[14:15], v[57:58]
	v_fma_f64 v[10:11], v[10:11], s[14:15], -v[57:58]
	v_add_f64 v[55:56], v[37:38], v[55:56]
	v_fma_f64 v[37:38], v[6:7], s[0:1], -v[27:28]
	v_fma_f64 v[6:7], v[6:7], s[0:1], v[27:28]
	v_add_f64 v[10:11], v[10:11], v[16:17]
	v_add_f64 v[37:38], v[37:38], v[39:40]
	v_fma_f64 v[39:40], v[4:5], s[0:1], v[12:13]
	v_fma_f64 v[12:13], v[4:5], s[0:1], -v[12:13]
	v_add_f64 v[4:5], v[6:7], v[8:9]
	v_mul_lo_u16 v8, v108, 17
	v_and_b32_e32 v8, 0xffff, v8
	v_lshl_add_u32 v92, v8, 4, v172
	v_add_f64 v[39:40], v[39:40], v[55:56]
	v_add_f64 v[6:7], v[12:13], v[10:11]
	ds_write_b128 v92, v[72:75]
	ds_write_b128 v92, v[68:71] offset:16
	ds_write_b128 v92, v[84:87] offset:32
	;; [unrolled: 1-line block ×16, first 2 shown]
	s_waitcnt lgkmcnt(0)
	s_barrier
	buffer_gl0_inv
	ds_read_b128 v[84:87], v20
	ds_read_b128 v[96:99], v20 offset:1088
	ds_read_b128 v[144:147], v20 offset:9248
	;; [unrolled: 1-line block ×15, first 2 shown]
                                        ; implicit-def: $vgpr0_vgpr1
	s_and_saveexec_b32 s0, vcc_lo
	s_cbranch_execz .LBB0_3
; %bb.2:
	ds_read_b128 v[76:79], v20 offset:8704
	ds_read_b128 v[0:3], v20 offset:17952
.LBB0_3:
	s_or_b32 exec_lo, exec_lo, s0
	buffer_load_dword v27, off, s[56:59], 0 ; 4-byte Folded Reload
	v_mov_b32_e32 v16, 0xf0f1
	v_mov_b32_e32 v15, 4
	s_waitcnt vmcnt(0)
	v_add_nc_u16 v4, v27, 0x44
	v_and_b32_e32 v6, 0xff, v27
	v_add_nc_u16 v9, v27, 0x88
	v_add_co_u32 v5, null, 0xcc, v27
	v_and_b32_e32 v7, 0xff, v4
	v_mul_lo_u16 v6, 0xf1, v6
	v_and_b32_e32 v11, 0xff, v9
	v_add_co_u32 v8, null, 0x110, v27
	v_mul_lo_u16 v7, 0xf1, v7
	v_lshrrev_b16 v6, 12, v6
	v_mul_lo_u16 v11, 0xf1, v11
	v_add_co_u32 v10, null, 0x154, v27
	v_lshrrev_b16 v7, 12, v7
	v_mul_lo_u16 v13, v6, 17
	v_lshrrev_b16 v11, 12, v11
	v_mul_u32_u24_sdwa v21, v8, v16 dst_sel:DWORD dst_unused:UNUSED_PAD src0_sel:WORD_0 src1_sel:DWORD
	v_mul_u32_u24_sdwa v22, v10, v16 dst_sel:DWORD dst_unused:UNUSED_PAD src0_sel:WORD_0 src1_sel:DWORD
	v_mul_lo_u16 v14, v7, 17
	v_sub_nc_u16 v13, v27, v13
	v_mul_lo_u16 v17, v11, 17
	v_add_co_u32 v12, null, 0x198, v27
	v_sub_nc_u16 v39, v4, v14
	v_mul_u32_u24_sdwa v14, v5, v16 dst_sel:DWORD dst_unused:UNUSED_PAD src0_sel:WORD_0 src1_sel:DWORD
	v_add_co_u32 v4, null, 0x1dc, v27
	v_lshlrev_b32_sdwa v18, v15, v13 dst_sel:DWORD dst_unused:UNUSED_PAD src0_sel:DWORD src1_sel:BYTE_0
	v_sub_nc_u16 v40, v9, v17
	v_lshrrev_b32_e32 v9, 20, v14
	v_lshrrev_b32_e32 v14, 20, v21
	v_lshlrev_b32_sdwa v19, v15, v39 dst_sel:DWORD dst_unused:UNUSED_PAD src0_sel:DWORD src1_sel:BYTE_0
	s_clause 0x1
	global_load_dwordx4 v[69:72], v18, s[2:3]
	global_load_dwordx4 v[47:50], v19, s[2:3]
	v_lshrrev_b32_e32 v18, 20, v22
	v_mul_lo_u16 v22, v14, 17
	v_mul_u32_u24_sdwa v23, v4, v16 dst_sel:DWORD dst_unused:UNUSED_PAD src0_sel:WORD_0 src1_sel:DWORD
	v_mul_lo_u16 v21, v9, 17
	v_lshlrev_b32_sdwa v17, v15, v40 dst_sel:DWORD dst_unused:UNUSED_PAD src0_sel:DWORD src1_sel:BYTE_0
	v_mul_lo_u16 v24, v18, 17
	v_sub_nc_u16 v8, v8, v22
	v_lshrrev_b32_e32 v22, 20, v23
	v_sub_nc_u16 v21, v5, v21
	v_mul_u32_u24_sdwa v19, v12, v16 dst_sel:DWORD dst_unused:UNUSED_PAD src0_sel:WORD_0 src1_sel:DWORD
	v_sub_nc_u16 v10, v10, v24
	v_lshlrev_b32_sdwa v24, v15, v8 dst_sel:DWORD dst_unused:UNUSED_PAD src0_sel:DWORD src1_sel:WORD_0
	v_mul_lo_u16 v25, v22, 17
	v_lshlrev_b32_sdwa v23, v15, v21 dst_sel:DWORD dst_unused:UNUSED_PAD src0_sel:DWORD src1_sel:WORD_0
	s_clause 0x1
	global_load_dwordx4 v[124:127], v17, s[2:3]
	global_load_dwordx4 v[120:123], v23, s[2:3]
	v_sub_nc_u16 v17, v4, v25
	v_lshlrev_b32_sdwa v26, v15, v10 dst_sel:DWORD dst_unused:UNUSED_PAD src0_sel:DWORD src1_sel:WORD_0
	v_add_co_u32 v4, s0, 0x220, v27
	s_clause 0x1
	global_load_dwordx4 v[112:115], v24, s[2:3]
	global_load_dwordx4 v[100:103], v26, s[2:3]
	v_lshlrev_b32_sdwa v24, v15, v17 dst_sel:DWORD dst_unused:UNUSED_PAD src0_sel:DWORD src1_sel:WORD_0
	v_mul_u32_u24_sdwa v16, v4, v16 dst_sel:DWORD dst_unused:UNUSED_PAD src0_sel:WORD_0 src1_sel:DWORD
	v_lshrrev_b32_e32 v19, 20, v19
	v_mad_u16 v46, v18, 34, v10
	v_mad_u16 v43, v6, 34, v13
	global_load_dwordx4 v[55:58], v24, s[2:3]
	v_lshrrev_b32_e32 v16, 20, v16
	v_mul_lo_u16 v5, v19, 17
	v_mad_u16 v44, v9, 34, v21
	v_mad_u16 v62, v22, 34, v17
	;; [unrolled: 1-line block ×3, first 2 shown]
	buffer_store_dword v16, off, s[56:59], 0 offset:296 ; 4-byte Folded Spill
	v_mul_lo_u16 v16, v16, 17
	v_sub_nc_u16 v12, v12, v5
	v_and_b32_e32 v63, 0xff, v43
	v_and_b32_e32 v73, 0xffff, v44
	;; [unrolled: 1-line block ×3, first 2 shown]
	v_sub_nc_u16 v16, v4, v16
	v_lshlrev_b32_sdwa v23, v15, v12 dst_sel:DWORD dst_unused:UNUSED_PAD src0_sel:DWORD src1_sel:WORD_0
	v_mad_u16 v61, v19, 34, v12
	v_and_b32_e32 v75, 0xffff, v46
	v_and_b32_e32 v81, 0xffff, v62
	v_lshlrev_b32_sdwa v15, v15, v16 dst_sel:DWORD dst_unused:UNUSED_PAD src0_sel:DWORD src1_sel:WORD_0
	global_load_dwordx4 v[88:91], v23, s[2:3]
	buffer_store_dword v16, off, s[56:59], 0 offset:300 ; 4-byte Folded Spill
	v_and_b32_e32 v80, 0xffff, v61
	v_lshl_add_u32 v95, v63, 4, v172
	global_load_dwordx4 v[173:176], v15, s[2:3]
	v_mov_b32_e32 v15, 34
	v_add_co_ci_u32_e64 v5, null, 0, 0, s0
	v_lshl_add_u32 v73, v73, 4, v172
	v_mul_u32_u24_sdwa v42, v11, v15 dst_sel:DWORD dst_unused:UNUSED_PAD src0_sel:WORD_0 src1_sel:DWORD
	v_mul_u32_u24_sdwa v41, v7, v15 dst_sel:DWORD dst_unused:UNUSED_PAD src0_sel:WORD_0 src1_sel:DWORD
	v_add_nc_u32_sdwa v68, v42, v40 dst_sel:DWORD dst_unused:UNUSED_PAD src0_sel:DWORD src1_sel:BYTE_0
	v_add_nc_u32_sdwa v64, v41, v39 dst_sel:DWORD dst_unused:UNUSED_PAD src0_sel:DWORD src1_sel:BYTE_0
	v_lshl_add_u32 v68, v68, 4, v172
	v_lshl_add_u32 v82, v64, 4, v172
	s_waitcnt vmcnt(8) lgkmcnt(13)
	v_mul_f64 v[6:7], v[146:147], v[71:72]
	s_waitcnt vmcnt(7) lgkmcnt(12)
	v_mul_f64 v[10:11], v[142:143], v[49:50]
	v_mul_f64 v[12:13], v[140:141], v[49:50]
	;; [unrolled: 1-line block ×3, first 2 shown]
	s_waitcnt vmcnt(6) lgkmcnt(9)
	v_mul_f64 v[14:15], v[154:155], v[126:127]
	s_waitcnt vmcnt(5) lgkmcnt(8)
	v_mul_f64 v[18:19], v[150:151], v[122:123]
	v_mul_f64 v[21:22], v[148:149], v[122:123]
	;; [unrolled: 1-line block ×3, first 2 shown]
	v_fma_f64 v[6:7], v[144:145], v[69:70], -v[6:7]
	v_fma_f64 v[10:11], v[140:141], v[47:48], -v[10:11]
	buffer_store_dword v47, off, s[56:59], 0 offset:360 ; 4-byte Folded Spill
	buffer_store_dword v48, off, s[56:59], 0 offset:364 ; 4-byte Folded Spill
	;; [unrolled: 1-line block ×4, first 2 shown]
	s_waitcnt vmcnt(4) lgkmcnt(5)
	v_mul_f64 v[23:24], v[162:163], v[114:115]
	v_mul_f64 v[25:26], v[160:161], v[114:115]
	s_waitcnt vmcnt(3) lgkmcnt(4)
	v_mul_f64 v[27:28], v[158:159], v[102:103]
	v_mul_f64 v[29:30], v[156:157], v[102:103]
	v_fma_f64 v[8:9], v[146:147], v[69:70], v[8:9]
	s_waitcnt vmcnt(2) lgkmcnt(0)
	v_mul_f64 v[35:36], v[166:167], v[57:58]
	v_mul_f64 v[37:38], v[164:165], v[57:58]
	v_fma_f64 v[14:15], v[152:153], v[124:125], -v[14:15]
	v_fma_f64 v[18:19], v[148:149], v[120:121], -v[18:19]
	v_fma_f64 v[39:40], v[150:151], v[120:121], v[21:22]
	v_fma_f64 v[16:17], v[154:155], v[124:125], v[16:17]
	v_add_f64 v[6:7], v[84:85], -v[6:7]
	v_add_f64 v[10:11], v[96:97], -v[10:11]
	v_fma_f64 v[41:42], v[160:161], v[112:113], -v[23:24]
	v_fma_f64 v[43:44], v[162:163], v[112:113], v[25:26]
	s_waitcnt vmcnt(1)
	v_mul_f64 v[31:32], v[170:171], v[90:91]
	v_mul_f64 v[33:34], v[168:169], v[90:91]
	v_fma_f64 v[45:46], v[156:157], v[100:101], -v[27:28]
	v_add_f64 v[8:9], v[86:87], -v[8:9]
	v_fma_f64 v[53:54], v[164:165], v[55:56], -v[35:36]
	buffer_store_dword v55, off, s[56:59], 0 offset:320 ; 4-byte Folded Spill
	buffer_store_dword v56, off, s[56:59], 0 offset:324 ; 4-byte Folded Spill
	;; [unrolled: 1-line block ×4, first 2 shown]
	s_waitcnt vmcnt(0)
	v_mul_f64 v[57:58], v[2:3], v[175:176]
	v_mul_f64 v[59:60], v[0:1], v[175:176]
	s_waitcnt_vscnt null, 0x0
	s_barrier
	v_add_f64 v[14:15], v[104:105], -v[14:15]
	v_add_f64 v[21:22], v[108:109], -v[18:19]
	;; [unrolled: 1-line block ×6, first 2 shown]
	v_fma_f64 v[49:50], v[168:169], v[88:89], -v[31:32]
	v_fma_f64 v[51:52], v[170:171], v[88:89], v[33:34]
	v_fma_f64 v[41:42], v[96:97], 2.0, -v[10:11]
	v_fma_f64 v[18:19], v[0:1], v[173:174], -v[57:58]
	buffer_store_dword v173, off, s[56:59], 0 offset:304 ; 4-byte Folded Spill
	buffer_store_dword v174, off, s[56:59], 0 offset:308 ; 4-byte Folded Spill
	;; [unrolled: 1-line block ×4, first 2 shown]
	v_fma_f64 v[0:1], v[84:85], 2.0, -v[6:7]
	s_waitcnt_vscnt null, 0x0
	buffer_gl0_inv
	v_add_f64 v[33:34], v[132:133], -v[49:50]
	v_add_f64 v[35:36], v[134:135], -v[51:52]
	v_fma_f64 v[49:50], v[108:109], 2.0, -v[21:22]
	v_fma_f64 v[51:52], v[110:111], 2.0, -v[23:24]
	v_add_f64 v[204:205], v[76:77], -v[18:19]
	v_lshl_add_u32 v19, v80, 4, v172
	v_lshl_add_u32 v18, v81, 4, v172
	v_fma_f64 v[61:62], v[132:133], 2.0, -v[33:34]
	v_fma_f64 v[63:64], v[134:135], 2.0, -v[35:36]
	v_fma_f64 v[12:13], v[142:143], v[47:48], v[12:13]
	v_fma_f64 v[47:48], v[158:159], v[100:101], v[29:30]
	v_add_f64 v[29:30], v[128:129], -v[45:46]
	v_fma_f64 v[45:46], v[104:105], 2.0, -v[14:15]
	v_add_f64 v[12:13], v[98:99], -v[12:13]
	v_add_f64 v[31:32], v[130:131], -v[47:48]
	v_fma_f64 v[47:48], v[106:107], 2.0, -v[16:17]
	v_fma_f64 v[57:58], v[128:129], 2.0, -v[29:30]
	v_fma_f64 v[55:56], v[166:167], v[55:56], v[37:38]
	v_add_f64 v[37:38], v[136:137], -v[53:54]
	v_fma_f64 v[53:54], v[116:117], 2.0, -v[25:26]
	v_fma_f64 v[43:44], v[98:99], 2.0, -v[12:13]
	v_add_f64 v[39:40], v[138:139], -v[55:56]
	v_fma_f64 v[55:56], v[118:119], 2.0, -v[27:28]
	v_fma_f64 v[65:66], v[2:3], v[173:174], v[59:60]
	v_fma_f64 v[2:3], v[86:87], 2.0, -v[8:9]
	v_fma_f64 v[59:60], v[130:131], 2.0, -v[31:32]
	;; [unrolled: 1-line block ×3, first 2 shown]
	ds_write_b128 v95, v[6:9] offset:272
	ds_write_b128 v95, v[0:3]
	ds_write_b128 v82, v[10:13] offset:272
	v_add_f64 v[206:207], v[78:79], -v[65:66]
	v_fma_f64 v[86:87], v[138:139], 2.0, -v[39:40]
	v_lshl_add_u32 v66, v74, 4, v172
	v_lshl_add_u32 v65, v75, 4, v172
	buffer_store_dword v82, off, s[56:59], 0 offset:388 ; 4-byte Folded Spill
	ds_write_b128 v82, v[41:44]
	ds_write_b128 v68, v[45:48]
	buffer_store_dword v68, off, s[56:59], 0 offset:380 ; 4-byte Folded Spill
	ds_write_b128 v68, v[14:17] offset:272
	ds_write_b128 v73, v[49:52]
	buffer_store_dword v73, off, s[56:59], 0 offset:392 ; 4-byte Folded Spill
	ds_write_b128 v73, v[21:24] offset:272
	;; [unrolled: 3-line block ×6, first 2 shown]
	s_and_saveexec_b32 s0, vcc_lo
	s_cbranch_execz .LBB0_5
; %bb.4:
	s_clause 0x1
	buffer_load_dword v6, off, s[56:59], 0 offset:296
	buffer_load_dword v7, off, s[56:59], 0 offset:300
	v_fma_f64 v[2:3], v[78:79], 2.0, -v[206:207]
	v_fma_f64 v[0:1], v[76:77], 2.0, -v[204:205]
	s_waitcnt vmcnt(0)
	v_mad_u16 v6, v6, 34, v7
	v_and_b32_e32 v6, 0xffff, v6
	v_lshl_add_u32 v6, v6, 4, v172
	ds_write_b128 v6, v[0:3]
	ds_write_b128 v6, v[204:207] offset:272
.LBB0_5:
	s_or_b32 exec_lo, exec_lo, s0
	s_waitcnt lgkmcnt(0)
	s_waitcnt_vscnt null, 0x0
	s_barrier
	buffer_gl0_inv
	v_mov_b32_e32 v83, v172
	ds_read_b128 v[172:175], v20
	ds_read_b128 v[0:3], v20 offset:1088
	ds_read_b128 v[10:13], v20 offset:2176
	;; [unrolled: 1-line block ×16, first 2 shown]
	buffer_load_dword v68, off, s[56:59], 0 ; 4-byte Folded Reload
	s_mov_b32 s46, 0x2a9d6da3
	s_mov_b32 s47, 0xbfe58eea
	s_mov_b32 s16, 0x75d4884
	s_mov_b32 s17, 0x3fe7a5f6
	s_mov_b32 s44, 0x7c9e640b
	s_mov_b32 s45, 0xbfeca52d
	s_mov_b32 s14, 0x2b2883cd
	s_mov_b32 s15, 0x3fdc86fa
	s_mov_b32 s40, 0xeb564b22
	s_mov_b32 s41, 0xbfefdd0d
	s_mov_b32 s12, 0x923c349f
	s_mov_b32 s13, 0xbfeec746
	s_mov_b32 s6, 0xc61f0d01
	s_mov_b32 s7, 0xbfd183b1
	s_mov_b32 s20, 0x6c9a05f6
	s_mov_b32 s21, 0xbfe9895b
	s_mov_b32 s28, 0x4363dd80
	s_mov_b32 s29, 0xbfe0d888
	s_mov_b32 s26, 0x910ea3b9
	s_mov_b32 s27, 0xbfeb34fa
	s_mov_b32 s36, 0x5d8e7cdc
	s_mov_b32 s37, 0xbfd71e95
	s_mov_b32 s22, 0x370991
	s_mov_b32 s30, 0x7faef3
	s_mov_b32 s23, 0x3fedd6d0
	s_mov_b32 s31, 0xbfef7484
	s_mov_b32 s50, s28
	s_mov_b32 s48, s12
	s_mov_b32 s25, 0x3feca52d
	s_mov_b32 s24, s44
	s_mov_b32 s39, 0x3fd71e95
	s_mov_b32 s38, s36
	s_mov_b32 s43, 0x3fc7851a
	s_mov_b32 s42, s34
	s_mov_b32 s52, s20
	s_waitcnt vmcnt(0)
	v_add_co_u32 v6, s0, 0xffffffde, v68
	v_add_co_ci_u32_e64 v7, null, 0, -1, s0
	v_cndmask_b32_e32 v8, v6, v68, vcc_lo
	v_cndmask_b32_e64 v9, v7, 0, vcc_lo
	v_lshlrev_b64 v[18:19], 8, v[8:9]
	v_add_co_u32 v57, s0, s2, v18
	v_add_co_ci_u32_e64 v58, s0, s3, v19, s0
	s_clause 0x3
	global_load_dwordx4 v[63:66], v[57:58], off offset:320
	global_load_dwordx4 v[84:87], v[57:58], off offset:304
	;; [unrolled: 1-line block ×4, first 2 shown]
	s_mov_b32 s0, 0x3259b75e
	s_mov_b32 s1, 0x3fb79ee6
	s_waitcnt vmcnt(0) lgkmcnt(15)
	v_mul_f64 v[18:19], v[2:3], v[134:135]
	v_fma_f64 v[59:60], v[0:1], v[132:133], -v[18:19]
	v_mul_f64 v[0:1], v[0:1], v[134:135]
	v_fma_f64 v[61:62], v[2:3], v[132:133], v[0:1]
	s_waitcnt lgkmcnt(14)
	v_mul_f64 v[0:1], v[12:13], v[98:99]
	v_fma_f64 v[220:221], v[10:11], v[96:97], -v[0:1]
	v_mul_f64 v[0:1], v[10:11], v[98:99]
	v_fma_f64 v[218:219], v[12:13], v[96:97], v[0:1]
	s_waitcnt lgkmcnt(13)
	v_mul_f64 v[0:1], v[16:17], v[86:87]
	v_fma_f64 v[216:217], v[14:15], v[84:85], -v[0:1]
	v_mul_f64 v[0:1], v[14:15], v[86:87]
	v_fma_f64 v[212:213], v[16:17], v[84:85], v[0:1]
	s_waitcnt lgkmcnt(12)
	v_mul_f64 v[0:1], v[23:24], v[65:66]
	v_fma_f64 v[210:211], v[21:22], v[63:64], -v[0:1]
	v_mul_f64 v[0:1], v[21:22], v[65:66]
	buffer_store_dword v63, off, s[56:59], 0 offset:340 ; 4-byte Folded Spill
	buffer_store_dword v64, off, s[56:59], 0 offset:344 ; 4-byte Folded Spill
	;; [unrolled: 1-line block ×4, first 2 shown]
	s_clause 0x3
	global_load_dwordx4 v[104:107], v[57:58], off offset:384
	global_load_dwordx4 v[108:111], v[57:58], off offset:368
	;; [unrolled: 1-line block ×4, first 2 shown]
	v_fma_f64 v[200:201], v[23:24], v[63:64], v[0:1]
	s_waitcnt vmcnt(0) lgkmcnt(11)
	v_mul_f64 v[0:1], v[27:28], v[150:151]
	v_fma_f64 v[202:203], v[25:26], v[148:149], -v[0:1]
	v_mul_f64 v[0:1], v[25:26], v[150:151]
	v_fma_f64 v[196:197], v[27:28], v[148:149], v[0:1]
	s_waitcnt lgkmcnt(10)
	v_mul_f64 v[0:1], v[31:32], v[118:119]
	v_fma_f64 v[192:193], v[29:30], v[116:117], -v[0:1]
	v_mul_f64 v[0:1], v[29:30], v[118:119]
	v_fma_f64 v[188:189], v[31:32], v[116:117], v[0:1]
	s_waitcnt lgkmcnt(9)
	v_mul_f64 v[0:1], v[35:36], v[110:111]
	v_add_f64 v[31:32], v[174:175], v[61:62]
	v_fma_f64 v[17:18], v[33:34], v[108:109], -v[0:1]
	v_mul_f64 v[0:1], v[33:34], v[110:111]
	v_add_f64 v[31:32], v[31:32], v[218:219]
	v_fma_f64 v[13:14], v[35:36], v[108:109], v[0:1]
	s_waitcnt lgkmcnt(8)
	v_mul_f64 v[0:1], v[39:40], v[106:107]
	v_add_f64 v[31:32], v[31:32], v[212:213]
	v_fma_f64 v[9:10], v[37:38], v[104:105], -v[0:1]
	v_mul_f64 v[0:1], v[37:38], v[106:107]
	v_add_f64 v[31:32], v[31:32], v[200:201]
	v_fma_f64 v[0:1], v[39:40], v[104:105], v[0:1]
	v_add_f64 v[31:32], v[31:32], v[196:197]
	buffer_store_dword v0, off, s[56:59], 0 offset:4 ; 4-byte Folded Spill
	buffer_store_dword v1, off, s[56:59], 0 offset:8 ; 4-byte Folded Spill
	s_clause 0x7
	global_load_dwordx4 v[136:139], v[57:58], off offset:448
	global_load_dwordx4 v[140:143], v[57:58], off offset:432
	;; [unrolled: 1-line block ×8, first 2 shown]
	v_add_f64 v[31:32], v[31:32], v[188:189]
	v_add_f64 v[31:32], v[31:32], v[13:14]
	s_waitcnt vmcnt(3) lgkmcnt(0)
	v_mul_f64 v[29:30], v[170:171], v[130:131]
	v_mul_f64 v[23:24], v[51:52], v[142:143]
	;; [unrolled: 1-line block ×4, first 2 shown]
	v_add_f64 v[31:32], v[31:32], v[0:1]
	s_waitcnt vmcnt(1)
	v_mul_f64 v[25:26], v[180:181], v[158:159]
	v_fma_f64 v[33:34], v[168:169], v[128:129], -v[29:30]
	v_mul_f64 v[29:30], v[168:169], v[130:131]
	v_fma_f64 v[194:195], v[49:50], v[140:141], -v[23:24]
	;; [unrolled: 2-line block ×4, first 2 shown]
	v_mul_f64 v[15:16], v[45:46], v[146:147]
	v_fma_f64 v[35:36], v[170:171], v[128:129], v[29:30]
	v_add_f64 v[29:30], v[172:173], v[59:60]
	v_fma_f64 v[190:191], v[51:52], v[140:141], v[23:24]
	v_mul_f64 v[23:24], v[55:56], v[138:139]
	v_fma_f64 v[2:3], v[43:44], v[160:161], v[2:3]
	v_fma_f64 v[15:16], v[47:48], v[144:145], v[15:16]
	v_add_f64 v[43:44], v[61:62], -v[35:36]
	v_add_f64 v[29:30], v[29:30], v[220:221]
	v_fma_f64 v[208:209], v[53:54], v[136:137], -v[23:24]
	v_mul_f64 v[23:24], v[53:54], v[138:139]
	v_add_f64 v[31:32], v[31:32], v[2:3]
	v_mul_f64 v[49:50], v[43:44], s[46:47]
	v_add_f64 v[29:30], v[29:30], v[216:217]
	v_mul_f64 v[37:38], v[43:44], s[36:37]
	v_fma_f64 v[198:199], v[55:56], v[136:137], v[23:24]
	s_waitcnt vmcnt(0)
	v_mul_f64 v[23:24], v[186:187], v[166:167]
	v_add_f64 v[31:32], v[31:32], v[15:16]
	v_add_f64 v[29:30], v[29:30], v[210:211]
	v_fma_f64 v[214:215], v[184:185], v[164:165], -v[23:24]
	v_mul_f64 v[23:24], v[184:185], v[166:167]
	v_add_f64 v[31:32], v[31:32], v[190:191]
	v_add_f64 v[29:30], v[29:30], v[202:203]
	v_fma_f64 v[184:185], v[186:187], v[164:165], v[23:24]
	v_mul_f64 v[23:24], v[182:183], v[158:159]
	v_add_f64 v[31:32], v[31:32], v[198:199]
	v_add_f64 v[29:30], v[29:30], v[192:193]
	v_fma_f64 v[23:24], v[180:181], v[156:157], -v[23:24]
	v_fma_f64 v[180:181], v[182:183], v[156:157], v[25:26]
	v_mul_f64 v[25:26], v[178:179], v[154:155]
	v_add_f64 v[31:32], v[31:32], v[184:185]
	v_add_f64 v[29:30], v[29:30], v[17:18]
	v_fma_f64 v[27:28], v[176:177], v[152:153], -v[25:26]
	v_mul_f64 v[25:26], v[176:177], v[154:155]
	v_add_f64 v[31:32], v[31:32], v[180:181]
	v_add_f64 v[29:30], v[29:30], v[9:10]
	;; [unrolled: 1-line block ×3, first 2 shown]
	v_fma_f64 v[25:26], v[178:179], v[152:153], v[25:26]
	v_add_f64 v[79:80], v[220:221], -v[27:28]
	v_add_f64 v[29:30], v[29:30], v[11:12]
	v_add_f64 v[31:32], v[31:32], v[25:26]
	v_add_f64 v[81:82], v[218:219], -v[25:26]
	v_add_f64 v[77:78], v[218:219], v[25:26]
	v_mul_f64 v[218:219], v[79:80], s[24:25]
	v_add_f64 v[29:30], v[29:30], v[21:22]
	v_add_f64 v[170:171], v[31:32], v[35:36]
	;; [unrolled: 1-line block ×3, first 2 shown]
	v_mul_f64 v[25:26], v[81:82], s[46:47]
	v_add_f64 v[29:30], v[29:30], v[194:195]
	v_fma_f64 v[45:46], v[31:32], s[16:17], -v[49:50]
	v_fma_f64 v[49:50], v[31:32], s[16:17], v[49:50]
	v_add_f64 v[29:30], v[29:30], v[208:209]
	v_add_f64 v[45:46], v[172:173], v[45:46]
	v_add_f64 v[29:30], v[29:30], v[214:215]
	v_add_f64 v[29:30], v[29:30], v[23:24]
	v_add_f64 v[29:30], v[29:30], v[27:28]
	v_fma_f64 v[27:28], v[75:76], s[16:17], -v[25:26]
	v_fma_f64 v[25:26], v[75:76], s[16:17], v[25:26]
	v_add_f64 v[168:169], v[29:30], v[33:34]
	v_add_f64 v[33:34], v[59:60], -v[33:34]
	v_add_f64 v[29:30], v[61:62], v[35:36]
	v_add_f64 v[61:62], v[172:173], v[49:50]
	v_fma_f64 v[35:36], v[31:32], s[22:23], -v[37:38]
	v_fma_f64 v[37:38], v[31:32], s[22:23], v[37:38]
	v_mul_f64 v[51:52], v[33:34], s[46:47]
	v_mul_f64 v[39:40], v[33:34], s[36:37]
	v_add_f64 v[41:42], v[172:173], v[35:36]
	v_add_f64 v[37:38], v[172:173], v[37:38]
	v_fma_f64 v[49:50], v[29:30], s[16:17], -v[51:52]
	v_fma_f64 v[47:48], v[29:30], s[16:17], v[51:52]
	v_fma_f64 v[35:36], v[29:30], s[22:23], v[39:40]
	v_fma_f64 v[39:40], v[29:30], s[22:23], -v[39:40]
	v_add_f64 v[63:64], v[174:175], v[49:50]
	v_mul_f64 v[49:50], v[43:44], s[44:45]
	v_add_f64 v[35:36], v[174:175], v[35:36]
	v_add_f64 v[39:40], v[174:175], v[39:40]
	;; [unrolled: 1-line block ×3, first 2 shown]
	v_fma_f64 v[51:52], v[31:32], s[14:15], -v[49:50]
	v_fma_f64 v[49:50], v[31:32], s[14:15], v[49:50]
	v_add_f64 v[65:66], v[172:173], v[51:52]
	v_mul_f64 v[51:52], v[33:34], s[44:45]
	v_add_f64 v[178:179], v[172:173], v[49:50]
	v_fma_f64 v[49:50], v[29:30], s[14:15], -v[51:52]
	v_fma_f64 v[53:54], v[29:30], s[14:15], v[51:52]
	v_add_f64 v[182:183], v[174:175], v[49:50]
	v_mul_f64 v[49:50], v[43:44], s[40:41]
	v_add_f64 v[176:177], v[174:175], v[53:54]
	;; [unrolled: 5-line block ×7, first 2 shown]
	v_fma_f64 v[49:50], v[29:30], s[18:19], -v[51:52]
	v_fma_f64 v[53:54], v[29:30], s[18:19], v[51:52]
	v_add_f64 v[244:245], v[174:175], v[49:50]
	v_mul_f64 v[49:50], v[43:44], s[28:29]
	v_mul_f64 v[43:44], v[43:44], s[34:35]
	v_add_f64 v[238:239], v[174:175], v[53:54]
	v_fma_f64 v[51:52], v[31:32], s[26:27], -v[49:50]
	v_fma_f64 v[49:50], v[31:32], s[26:27], v[49:50]
	v_add_f64 v[246:247], v[172:173], v[51:52]
	v_mul_f64 v[51:52], v[33:34], s[28:29]
	v_add_f64 v[250:251], v[172:173], v[49:50]
	v_mul_f64 v[33:34], v[33:34], s[34:35]
	v_fma_f64 v[49:50], v[29:30], s[26:27], -v[51:52]
	v_fma_f64 v[53:54], v[29:30], s[26:27], v[51:52]
	v_add_f64 v[252:253], v[174:175], v[49:50]
	v_fma_f64 v[49:50], v[31:32], s[30:31], -v[43:44]
	v_add_f64 v[248:249], v[174:175], v[53:54]
	v_add_f64 v[53:54], v[25:26], v[37:38]
	v_fma_f64 v[31:32], v[31:32], s[30:31], v[43:44]
	v_mul_f64 v[37:38], v[81:82], s[34:35]
	v_add_f64 v[254:255], v[172:173], v[49:50]
	v_fma_f64 v[49:50], v[29:30], s[30:31], v[33:34]
	v_fma_f64 v[29:30], v[29:30], s[30:31], -v[33:34]
	v_add_f64 v[73:74], v[172:173], v[31:32]
	v_mul_f64 v[31:32], v[79:80], s[20:21]
	v_fma_f64 v[33:34], v[75:76], s[30:31], -v[37:38]
	v_fma_f64 v[37:38], v[75:76], s[30:31], v[37:38]
	v_add_f64 v[93:94], v[174:175], v[49:50]
	v_add_f64 v[49:50], v[27:28], v[41:42]
	v_mul_f64 v[27:28], v[79:80], s[46:47]
	v_add_f64 v[0:1], v[174:175], v[29:30]
	v_add_f64 v[33:34], v[33:34], v[186:187]
	v_mul_f64 v[174:175], v[81:82], s[48:49]
	v_mul_f64 v[186:187], v[81:82], s[24:25]
	v_add_f64 v[37:38], v[37:38], v[224:225]
	v_fma_f64 v[25:26], v[77:78], s[16:17], -v[27:28]
	v_fma_f64 v[29:30], v[77:78], s[16:17], v[27:28]
	v_add_f64 v[55:56], v[25:26], v[39:40]
	v_mul_f64 v[25:26], v[81:82], s[40:41]
	v_add_f64 v[51:52], v[29:30], v[35:36]
	v_mul_f64 v[39:40], v[79:80], s[34:35]
	v_fma_f64 v[27:28], v[75:76], s[0:1], -v[25:26]
	v_fma_f64 v[25:26], v[75:76], s[0:1], v[25:26]
	v_fma_f64 v[35:36], v[77:78], s[30:31], v[39:40]
	v_fma_f64 v[39:40], v[77:78], s[30:31], -v[39:40]
	v_add_f64 v[57:58], v[27:28], v[45:46]
	v_mul_f64 v[27:28], v[79:80], s[40:41]
	v_add_f64 v[61:62], v[25:26], v[61:62]
	v_mul_f64 v[45:46], v[81:82], s[50:51]
	v_add_f64 v[39:40], v[39:40], v[226:227]
	v_add_f64 v[35:36], v[35:36], v[222:223]
	v_fma_f64 v[29:30], v[77:78], s[0:1], v[27:28]
	v_fma_f64 v[25:26], v[77:78], s[0:1], -v[27:28]
	v_fma_f64 v[27:28], v[77:78], s[18:19], v[31:32]
	v_fma_f64 v[41:42], v[75:76], s[26:27], -v[45:46]
	;; [unrolled: 2-line block ×3, first 2 shown]
	v_add_f64 v[59:60], v[29:30], v[47:48]
	v_mul_f64 v[29:30], v[81:82], s[20:21]
	v_add_f64 v[63:64], v[25:26], v[63:64]
	v_mul_f64 v[81:82], v[81:82], s[38:39]
	v_add_f64 v[27:28], v[27:28], v[176:177]
	v_mul_f64 v[47:48], v[79:80], s[50:51]
	v_mul_f64 v[176:177], v[79:80], s[48:49]
	v_mul_f64 v[79:80], v[79:80], s[38:39]
	v_add_f64 v[41:42], v[41:42], v[228:229]
	v_add_f64 v[228:229], v[212:213], v[180:181]
	;; [unrolled: 1-line block ×3, first 2 shown]
	v_fma_f64 v[182:183], v[77:78], s[14:15], v[218:219]
	v_fma_f64 v[218:219], v[77:78], s[14:15], -v[218:219]
	v_add_f64 v[45:46], v[45:46], v[232:233]
	v_fma_f64 v[25:26], v[75:76], s[18:19], -v[29:30]
	v_fma_f64 v[29:30], v[75:76], s[18:19], v[29:30]
	v_fma_f64 v[220:221], v[75:76], s[22:23], -v[81:82]
	v_fma_f64 v[43:44], v[77:78], s[26:27], v[47:48]
	;; [unrolled: 2-line block ×4, first 2 shown]
	v_add_f64 v[182:183], v[182:183], v[248:249]
	v_add_f64 v[218:219], v[218:219], v[252:253]
	;; [unrolled: 1-line block ×4, first 2 shown]
	v_fma_f64 v[65:66], v[75:76], s[6:7], -v[174:175]
	v_fma_f64 v[174:175], v[75:76], s[6:7], v[174:175]
	v_fma_f64 v[178:179], v[75:76], s[14:15], -v[186:187]
	v_fma_f64 v[186:187], v[75:76], s[14:15], v[186:187]
	v_fma_f64 v[75:76], v[75:76], s[22:23], v[81:82]
	v_add_f64 v[43:44], v[43:44], v[230:231]
	v_add_f64 v[230:231], v[216:217], v[23:24]
	v_add_f64 v[23:24], v[216:217], -v[23:24]
	v_add_f64 v[47:48], v[47:48], v[234:235]
	v_add_f64 v[172:173], v[172:173], v[238:239]
	;; [unrolled: 1-line block ×10, first 2 shown]
	v_fma_f64 v[73:74], v[77:78], s[22:23], -v[79:80]
	v_mul_f64 v[93:94], v[23:24], s[40:41]
	v_add_f64 v[226:227], v[73:74], v[0:1]
	v_add_f64 v[0:1], v[212:213], -v[180:181]
	v_add_f64 v[180:181], v[200:201], v[184:185]
	v_add_f64 v[184:185], v[200:201], -v[184:185]
	v_mul_f64 v[73:74], v[0:1], s[44:45]
	v_mul_f64 v[79:80], v[0:1], s[40:41]
	v_fma_f64 v[75:76], v[230:231], s[14:15], -v[73:74]
	v_fma_f64 v[73:74], v[230:231], s[14:15], v[73:74]
	v_fma_f64 v[81:82], v[230:231], s[0:1], -v[79:80]
	v_fma_f64 v[79:80], v[230:231], s[0:1], v[79:80]
	v_add_f64 v[49:50], v[75:76], v[49:50]
	v_mul_f64 v[75:76], v[23:24], s[44:45]
	v_add_f64 v[53:54], v[73:74], v[53:54]
	v_add_f64 v[81:82], v[81:82], v[178:179]
	;; [unrolled: 1-line block ×4, first 2 shown]
	v_mul_f64 v[186:187], v[184:185], s[40:41]
	v_fma_f64 v[73:74], v[228:229], s[14:15], -v[75:76]
	v_fma_f64 v[77:78], v[228:229], s[14:15], v[75:76]
	v_fma_f64 v[200:201], v[178:179], s[0:1], -v[186:187]
	v_fma_f64 v[186:187], v[178:179], s[0:1], v[186:187]
	v_add_f64 v[55:56], v[73:74], v[55:56]
	v_mul_f64 v[73:74], v[0:1], s[20:21]
	v_add_f64 v[51:52], v[77:78], v[51:52]
	v_add_f64 v[49:50], v[200:201], v[49:50]
	;; [unrolled: 1-line block ×3, first 2 shown]
	v_fma_f64 v[75:76], v[230:231], s[18:19], -v[73:74]
	v_fma_f64 v[73:74], v[230:231], s[18:19], v[73:74]
	v_add_f64 v[57:58], v[75:76], v[57:58]
	v_mul_f64 v[75:76], v[23:24], s[20:21]
	v_add_f64 v[61:62], v[73:74], v[61:62]
	v_fma_f64 v[73:74], v[228:229], s[18:19], -v[75:76]
	v_fma_f64 v[77:78], v[228:229], s[18:19], v[75:76]
	v_add_f64 v[63:64], v[73:74], v[63:64]
	v_mul_f64 v[73:74], v[0:1], s[42:43]
	v_add_f64 v[59:60], v[77:78], v[59:60]
	;; [unrolled: 5-line block ×3, first 2 shown]
	s_mov_b32 s43, 0x3fe58eea
	s_mov_b32 s42, s46
	v_fma_f64 v[73:74], v[228:229], s[30:31], -v[75:76]
	v_fma_f64 v[77:78], v[228:229], s[30:31], v[75:76]
	v_add_f64 v[31:32], v[73:74], v[31:32]
	v_mul_f64 v[73:74], v[0:1], s[48:49]
	v_add_f64 v[27:28], v[77:78], v[27:28]
	v_fma_f64 v[75:76], v[230:231], s[6:7], -v[73:74]
	v_fma_f64 v[73:74], v[230:231], s[6:7], v[73:74]
	v_add_f64 v[33:34], v[75:76], v[33:34]
	v_mul_f64 v[75:76], v[23:24], s[48:49]
	v_add_f64 v[37:38], v[73:74], v[37:38]
	;; [unrolled: 5-line block ×5, first 2 shown]
	v_mul_f64 v[0:1], v[0:1], s[28:29]
	v_fma_f64 v[75:76], v[230:231], s[22:23], -v[73:74]
	v_fma_f64 v[73:74], v[230:231], s[22:23], v[73:74]
	v_add_f64 v[65:66], v[75:76], v[65:66]
	v_mul_f64 v[75:76], v[23:24], s[36:37]
	v_add_f64 v[73:74], v[73:74], v[174:175]
	v_fma_f64 v[174:175], v[230:231], s[26:27], -v[0:1]
	v_mul_f64 v[23:24], v[23:24], s[28:29]
	v_fma_f64 v[0:1], v[230:231], s[26:27], v[0:1]
	v_fma_f64 v[77:78], v[228:229], s[22:23], v[75:76]
	v_fma_f64 v[75:76], v[228:229], s[22:23], -v[75:76]
	v_add_f64 v[174:175], v[174:175], v[220:221]
	v_add_f64 v[0:1], v[0:1], v[224:225]
	;; [unrolled: 1-line block ×3, first 2 shown]
	v_fma_f64 v[172:173], v[228:229], s[0:1], v[93:94]
	v_add_f64 v[75:76], v[75:76], v[176:177]
	v_fma_f64 v[93:94], v[228:229], s[0:1], -v[93:94]
	v_fma_f64 v[176:177], v[228:229], s[26:27], v[23:24]
	v_fma_f64 v[23:24], v[228:229], s[26:27], -v[23:24]
	v_add_f64 v[172:173], v[172:173], v[182:183]
	v_add_f64 v[182:183], v[210:211], -v[214:215]
	v_add_f64 v[93:94], v[93:94], v[218:219]
	v_add_f64 v[176:177], v[176:177], v[222:223]
	v_add_f64 v[23:24], v[23:24], v[226:227]
	v_mul_f64 v[200:201], v[182:183], s[40:41]
	v_fma_f64 v[186:187], v[180:181], s[0:1], -v[200:201]
	v_fma_f64 v[210:211], v[180:181], s[0:1], v[200:201]
	v_add_f64 v[55:56], v[186:187], v[55:56]
	v_mul_f64 v[186:187], v[184:185], s[34:35]
	v_add_f64 v[51:52], v[210:211], v[51:52]
	v_fma_f64 v[200:201], v[178:179], s[30:31], -v[186:187]
	v_fma_f64 v[186:187], v[178:179], s[30:31], v[186:187]
	v_add_f64 v[57:58], v[200:201], v[57:58]
	v_mul_f64 v[200:201], v[182:183], s[34:35]
	v_add_f64 v[61:62], v[186:187], v[61:62]
	;; [unrolled: 5-line block ×10, first 2 shown]
	v_fma_f64 v[186:187], v[180:181], s[26:27], -v[200:201]
	v_fma_f64 v[210:211], v[180:181], s[26:27], v[200:201]
	v_add_f64 v[75:76], v[186:187], v[75:76]
	v_mul_f64 v[186:187], v[184:185], s[52:53]
	v_mul_f64 v[184:185], v[184:185], s[42:43]
	v_add_f64 v[77:78], v[210:211], v[77:78]
	v_fma_f64 v[200:201], v[178:179], s[18:19], -v[186:187]
	v_fma_f64 v[186:187], v[178:179], s[18:19], v[186:187]
	v_add_f64 v[81:82], v[200:201], v[81:82]
	v_mul_f64 v[200:201], v[182:183], s[52:53]
	v_add_f64 v[79:80], v[186:187], v[79:80]
	v_mul_f64 v[182:183], v[182:183], s[42:43]
	v_fma_f64 v[186:187], v[180:181], s[18:19], -v[200:201]
	v_fma_f64 v[210:211], v[180:181], s[18:19], v[200:201]
	v_add_f64 v[93:94], v[186:187], v[93:94]
	v_fma_f64 v[186:187], v[178:179], s[16:17], -v[184:185]
	v_fma_f64 v[178:179], v[178:179], s[16:17], v[184:185]
	v_add_f64 v[184:185], v[196:197], -v[198:199]
	v_add_f64 v[172:173], v[210:211], v[172:173]
	v_add_f64 v[174:175], v[186:187], v[174:175]
	v_fma_f64 v[186:187], v[180:181], s[16:17], v[182:183]
	v_add_f64 v[0:1], v[178:179], v[0:1]
	v_fma_f64 v[178:179], v[180:181], s[16:17], -v[182:183]
	v_add_f64 v[180:181], v[196:197], v[198:199]
	v_add_f64 v[182:183], v[202:203], -v[208:209]
	v_add_f64 v[176:177], v[186:187], v[176:177]
	v_mul_f64 v[186:187], v[184:185], s[12:13]
	v_add_f64 v[23:24], v[178:179], v[23:24]
	v_add_f64 v[178:179], v[202:203], v[208:209]
	v_fma_f64 v[196:197], v[178:179], s[6:7], -v[186:187]
	v_fma_f64 v[186:187], v[178:179], s[6:7], v[186:187]
	v_add_f64 v[49:50], v[196:197], v[49:50]
	v_mul_f64 v[196:197], v[182:183], s[12:13]
	v_add_f64 v[53:54], v[186:187], v[53:54]
	v_fma_f64 v[186:187], v[180:181], s[6:7], -v[196:197]
	v_fma_f64 v[198:199], v[180:181], s[6:7], v[196:197]
	v_add_f64 v[55:56], v[186:187], v[55:56]
	v_mul_f64 v[186:187], v[184:185], s[50:51]
	;; [unrolled: 5-line block ×7, first 2 shown]
	v_add_f64 v[37:38], v[186:187], v[37:38]
	s_mov_b32 s45, 0x3fefdd0d
	s_mov_b32 s44, s40
	v_fma_f64 v[186:187], v[180:181], s[14:15], -v[196:197]
	v_fma_f64 v[198:199], v[180:181], s[14:15], v[196:197]
	v_add_f64 v[39:40], v[186:187], v[39:40]
	v_mul_f64 v[186:187], v[184:185], s[34:35]
	v_add_f64 v[35:36], v[198:199], v[35:36]
	v_fma_f64 v[196:197], v[178:179], s[30:31], -v[186:187]
	v_fma_f64 v[186:187], v[178:179], s[30:31], v[186:187]
	v_add_f64 v[41:42], v[196:197], v[41:42]
	v_mul_f64 v[196:197], v[182:183], s[34:35]
	v_add_f64 v[45:46], v[186:187], v[45:46]
	;; [unrolled: 5-line block ×4, first 2 shown]
	v_fma_f64 v[186:187], v[180:181], s[0:1], -v[196:197]
	v_fma_f64 v[198:199], v[180:181], s[0:1], v[196:197]
	v_add_f64 v[75:76], v[186:187], v[75:76]
	v_mul_f64 v[186:187], v[184:185], s[36:37]
	v_mul_f64 v[184:185], v[184:185], s[20:21]
	v_add_f64 v[77:78], v[198:199], v[77:78]
	v_fma_f64 v[196:197], v[178:179], s[22:23], -v[186:187]
	v_fma_f64 v[186:187], v[178:179], s[22:23], v[186:187]
	v_add_f64 v[81:82], v[196:197], v[81:82]
	v_mul_f64 v[196:197], v[182:183], s[36:37]
	v_add_f64 v[79:80], v[186:187], v[79:80]
	v_mul_f64 v[182:183], v[182:183], s[20:21]
	v_fma_f64 v[186:187], v[180:181], s[22:23], -v[196:197]
	v_fma_f64 v[198:199], v[180:181], s[22:23], v[196:197]
	v_add_f64 v[93:94], v[186:187], v[93:94]
	v_fma_f64 v[186:187], v[178:179], s[18:19], -v[184:185]
	v_fma_f64 v[178:179], v[178:179], s[18:19], v[184:185]
	v_add_f64 v[184:185], v[188:189], -v[190:191]
	v_add_f64 v[172:173], v[198:199], v[172:173]
	v_add_f64 v[174:175], v[186:187], v[174:175]
	v_fma_f64 v[186:187], v[180:181], s[18:19], v[182:183]
	v_add_f64 v[0:1], v[178:179], v[0:1]
	v_fma_f64 v[178:179], v[180:181], s[18:19], -v[182:183]
	v_add_f64 v[180:181], v[188:189], v[190:191]
	v_add_f64 v[182:183], v[192:193], -v[194:195]
	v_add_f64 v[176:177], v[186:187], v[176:177]
	v_mul_f64 v[186:187], v[184:185], s[20:21]
	v_add_f64 v[23:24], v[178:179], v[23:24]
	v_add_f64 v[178:179], v[192:193], v[194:195]
	v_fma_f64 v[188:189], v[178:179], s[18:19], -v[186:187]
	v_fma_f64 v[186:187], v[178:179], s[18:19], v[186:187]
	v_add_f64 v[49:50], v[188:189], v[49:50]
	v_mul_f64 v[188:189], v[182:183], s[20:21]
	v_add_f64 v[53:54], v[186:187], v[53:54]
	v_fma_f64 v[186:187], v[180:181], s[18:19], -v[188:189]
	v_fma_f64 v[190:191], v[180:181], s[18:19], v[188:189]
	v_add_f64 v[55:56], v[186:187], v[55:56]
	v_mul_f64 v[186:187], v[184:185], s[48:49]
	;; [unrolled: 5-line block ×6, first 2 shown]
	v_add_f64 v[27:28], v[190:191], v[27:28]
	v_fma_f64 v[188:189], v[178:179], s[26:27], -v[186:187]
	v_add_f64 v[188:189], v[188:189], v[33:34]
	v_mul_f64 v[33:34], v[182:183], s[28:29]
	v_fma_f64 v[190:191], v[180:181], s[26:27], v[33:34]
	v_fma_f64 v[33:34], v[180:181], s[26:27], -v[33:34]
	v_add_f64 v[190:191], v[190:191], v[35:36]
	v_fma_f64 v[35:36], v[178:179], s[26:27], v[186:187]
	v_add_f64 v[192:193], v[33:34], v[39:40]
	v_mul_f64 v[33:34], v[184:185], s[44:45]
	v_add_f64 v[186:187], v[35:36], v[37:38]
	v_fma_f64 v[35:36], v[178:179], s[0:1], -v[33:34]
	v_fma_f64 v[33:34], v[178:179], s[0:1], v[33:34]
	v_add_f64 v[194:195], v[35:36], v[41:42]
	v_mul_f64 v[35:36], v[182:183], s[44:45]
	v_add_f64 v[198:199], v[33:34], v[45:46]
	v_fma_f64 v[33:34], v[180:181], s[0:1], -v[35:36]
	;; [unrolled: 5-line block ×7, first 2 shown]
	v_fma_f64 v[33:34], v[178:179], s[14:15], v[33:34]
	v_add_f64 v[174:175], v[35:36], v[174:175]
	v_mul_f64 v[35:36], v[182:183], s[24:25]
	v_add_f64 v[182:183], v[13:14], v[15:16]
	v_add_f64 v[13:14], v[13:14], -v[15:16]
	v_add_f64 v[0:1], v[33:34], v[0:1]
	v_fma_f64 v[37:38], v[180:181], s[14:15], v[35:36]
	v_fma_f64 v[33:34], v[180:181], s[14:15], -v[35:36]
	v_add_f64 v[180:181], v[17:18], v[21:22]
	v_mul_f64 v[15:16], v[13:14], s[28:29]
	v_add_f64 v[17:18], v[17:18], -v[21:22]
	v_add_f64 v[176:177], v[37:38], v[176:177]
	v_add_f64 v[178:179], v[33:34], v[23:24]
	v_fma_f64 v[21:22], v[180:181], s[26:27], -v[15:16]
	v_fma_f64 v[15:16], v[180:181], s[26:27], v[15:16]
	v_add_f64 v[49:50], v[21:22], v[49:50]
	v_mul_f64 v[21:22], v[17:18], s[28:29]
	v_add_f64 v[53:54], v[15:16], v[53:54]
	v_fma_f64 v[15:16], v[182:183], s[26:27], -v[21:22]
	v_fma_f64 v[23:24], v[182:183], s[26:27], v[21:22]
	v_add_f64 v[55:56], v[15:16], v[55:56]
	v_mul_f64 v[15:16], v[13:14], s[24:25]
	;; [unrolled: 5-line block ×12, first 2 shown]
	v_mul_f64 v[13:14], v[13:14], s[12:13]
	v_add_f64 v[232:233], v[57:58], v[77:78]
	v_fma_f64 v[21:22], v[180:181], s[16:17], -v[15:16]
	v_fma_f64 v[15:16], v[180:181], s[16:17], v[15:16]
	v_add_f64 v[226:227], v[21:22], v[81:82]
	v_mul_f64 v[21:22], v[17:18], s[42:43]
	v_add_f64 v[222:223], v[15:16], v[79:80]
	v_fma_f64 v[15:16], v[182:183], s[16:17], -v[21:22]
	v_fma_f64 v[57:58], v[182:183], s[16:17], v[21:22]
	v_add_f64 v[21:22], v[9:10], v[11:12]
	v_add_f64 v[9:10], v[9:10], -v[11:12]
	v_add_f64 v[220:221], v[15:16], v[93:94]
	v_fma_f64 v[15:16], v[180:181], s[6:7], -v[13:14]
	v_fma_f64 v[13:14], v[180:181], s[6:7], v[13:14]
	v_add_f64 v[224:225], v[57:58], v[172:173]
	v_add_f64 v[218:219], v[15:16], v[174:175]
	v_mul_f64 v[15:16], v[17:18], s[12:13]
	v_fma_f64 v[17:18], v[182:183], s[6:7], v[15:16]
	v_add_f64 v[216:217], v[17:18], v[176:177]
	v_add_f64 v[17:18], v[13:14], v[0:1]
	v_fma_f64 v[0:1], v[182:183], s[6:7], -v[15:16]
	v_add_f64 v[13:14], v[0:1], v[178:179]
	s_clause 0x1
	buffer_load_dword v0, off, s[56:59], 0 offset:4
	buffer_load_dword v1, off, s[56:59], 0 offset:8
	s_waitcnt vmcnt(0)
	s_waitcnt_vscnt null, 0x0
	s_barrier
	buffer_gl0_inv
	buffer_store_dword v83, off, s[56:59], 0 offset:4 ; 4-byte Folded Spill
	v_add_f64 v[11:12], v[0:1], -v[2:3]
	v_add_f64 v[15:16], v[0:1], v[2:3]
	v_mul_f64 v[0:1], v[11:12], s[34:35]
	v_fma_f64 v[2:3], v[21:22], s[30:31], -v[0:1]
	v_fma_f64 v[0:1], v[21:22], s[30:31], v[0:1]
	v_add_f64 v[172:173], v[2:3], v[49:50]
	v_mul_f64 v[2:3], v[9:10], s[34:35]
	v_add_f64 v[208:209], v[0:1], v[53:54]
	v_fma_f64 v[0:1], v[15:16], s[30:31], -v[2:3]
	v_fma_f64 v[49:50], v[15:16], s[30:31], v[2:3]
	v_add_f64 v[210:211], v[0:1], v[55:56]
	v_mul_f64 v[0:1], v[11:12], s[38:39]
	v_add_f64 v[174:175], v[49:50], v[51:52]
	;; [unrolled: 5-line block ×6, first 2 shown]
	v_mul_f64 v[39:40], v[9:10], s[44:45]
	v_mul_f64 v[33:34], v[9:10], s[12:13]
	v_fma_f64 v[2:3], v[21:22], s[16:17], -v[0:1]
	v_fma_f64 v[0:1], v[21:22], s[16:17], v[0:1]
	v_add_f64 v[192:193], v[2:3], v[31:32]
	v_mul_f64 v[2:3], v[9:10], s[42:43]
	v_add_f64 v[196:197], v[0:1], v[27:28]
	v_fma_f64 v[0:1], v[15:16], s[16:17], -v[2:3]
	v_fma_f64 v[31:32], v[15:16], s[16:17], v[2:3]
	v_add_f64 v[198:199], v[0:1], v[25:26]
	v_mul_f64 v[0:1], v[11:12], s[20:21]
	v_mul_f64 v[25:26], v[9:10], s[24:25]
	v_add_f64 v[194:195], v[31:32], v[29:30]
	v_mul_f64 v[31:32], v[11:12], s[12:13]
	v_fma_f64 v[29:30], v[15:16], s[6:7], v[33:34]
	v_fma_f64 v[33:34], v[15:16], s[6:7], -v[33:34]
	v_fma_f64 v[2:3], v[21:22], s[18:19], -v[0:1]
	v_fma_f64 v[0:1], v[21:22], s[18:19], v[0:1]
	v_fma_f64 v[27:28], v[21:22], s[6:7], -v[31:32]
	v_fma_f64 v[31:32], v[21:22], s[6:7], v[31:32]
	v_add_f64 v[29:30], v[29:30], v[224:225]
	v_add_f64 v[33:34], v[33:34], v[220:221]
	;; [unrolled: 1-line block ×3, first 2 shown]
	v_mul_f64 v[2:3], v[9:10], s[20:21]
	v_add_f64 v[212:213], v[0:1], v[212:213]
	v_fma_f64 v[9:10], v[15:16], s[0:1], v[39:40]
	v_add_f64 v[27:28], v[27:28], v[226:227]
	v_add_f64 v[31:32], v[31:32], v[222:223]
	v_fma_f64 v[23:24], v[15:16], s[18:19], v[2:3]
	v_fma_f64 v[0:1], v[15:16], s[18:19], -v[2:3]
	v_fma_f64 v[2:3], v[15:16], s[14:15], v[25:26]
	v_add_f64 v[37:38], v[9:10], v[216:217]
	v_fma_f64 v[25:26], v[15:16], s[14:15], -v[25:26]
	v_add_f64 v[202:203], v[23:24], v[202:203]
	v_mul_f64 v[23:24], v[11:12], s[24:25]
	v_mul_f64 v[11:12], v[11:12], s[44:45]
	v_add_f64 v[214:215], v[0:1], v[214:215]
	v_add_f64 v[2:3], v[2:3], v[232:233]
	;; [unrolled: 1-line block ×3, first 2 shown]
	v_fma_f64 v[0:1], v[21:22], s[14:15], -v[23:24]
	v_fma_f64 v[35:36], v[21:22], s[0:1], -v[11:12]
	v_fma_f64 v[9:10], v[21:22], s[0:1], v[11:12]
	v_fma_f64 v[11:12], v[15:16], s[0:1], -v[39:40]
	v_fma_f64 v[23:24], v[21:22], s[14:15], v[23:24]
	v_cmp_lt_u16_e64 s0, 33, v68
	v_add_f64 v[0:1], v[0:1], v[234:235]
	v_add_f64 v[35:36], v[35:36], v[218:219]
	;; [unrolled: 1-line block ×4, first 2 shown]
	v_cndmask_b32_e64 v13, 0, 0x242, s0
	v_add_f64 v[23:24], v[23:24], v[230:231]
	v_add_nc_u32_e32 v8, v8, v13
	v_lshl_add_u32 v73, v8, 4, v83
	ds_write_b128 v73, v[168:171]
	ds_write_b128 v73, v[172:175] offset:544
	ds_write_b128 v73, v[180:183] offset:1088
	ds_write_b128 v73, v[184:187] offset:1632
	ds_write_b128 v73, v[192:195] offset:2176
	ds_write_b128 v73, v[200:203] offset:2720
	ds_write_b128 v73, v[0:3] offset:3264
	ds_write_b128 v73, v[27:30] offset:3808
	ds_write_b128 v73, v[35:38] offset:4352
	ds_write_b128 v73, v[9:12] offset:4896
	ds_write_b128 v73, v[31:34] offset:5440
	ds_write_b128 v73, v[23:26] offset:5984
	ds_write_b128 v73, v[212:215] offset:6528
	ds_write_b128 v73, v[196:199] offset:7072
	ds_write_b128 v73, v[188:191] offset:7616
	ds_write_b128 v73, v[176:179] offset:8160
	ds_write_b128 v73, v[208:211] offset:8704
	s_waitcnt lgkmcnt(0)
	s_waitcnt_vscnt null, 0x0
	s_barrier
	buffer_gl0_inv
	ds_read_b128 v[236:239], v20
	ds_read_b128 v[176:179], v20 offset:9248
	ds_read_b128 v[232:235], v20 offset:1088
	;; [unrolled: 1-line block ×15, first 2 shown]
	s_and_saveexec_b32 s0, vcc_lo
	s_cbranch_execz .LBB0_7
; %bb.6:
	ds_read_b128 v[208:211], v20 offset:8704
	ds_read_b128 v[204:207], v20 offset:17952
	v_mov_b32_e32 v7, v5
	v_mov_b32_e32 v6, v4
.LBB0_7:
	s_or_b32 exec_lo, exec_lo, s0
	v_add_co_u32 v18, s0, s2, v241
	v_add_co_ci_u32_e64 v19, null, s3, 0, s0
	v_add_co_u32 v4, s0, 0x2000, v18
	v_add_co_ci_u32_e64 v5, s0, 0, v19, s0
	global_load_dwordx4 v[172:175], v[4:5], off offset:784
	s_waitcnt vmcnt(0) lgkmcnt(14)
	v_mul_f64 v[8:9], v[178:179], v[174:175]
	v_mul_f64 v[10:11], v[176:177], v[174:175]
	v_fma_f64 v[8:9], v[176:177], v[172:173], -v[8:9]
	v_fma_f64 v[10:11], v[178:179], v[172:173], v[10:11]
	global_load_dwordx4 v[176:179], v[4:5], off offset:1872
	s_waitcnt vmcnt(0) lgkmcnt(12)
	v_mul_f64 v[4:5], v[182:183], v[178:179]
	v_fma_f64 v[12:13], v[180:181], v[176:177], -v[4:5]
	v_mul_f64 v[4:5], v[180:181], v[178:179]
	v_add_f64 v[12:13], v[232:233], -v[12:13]
	v_fma_f64 v[14:15], v[182:183], v[176:177], v[4:5]
	v_add_co_u32 v4, s0, 0x2800, v18
	v_add_co_ci_u32_e64 v5, s0, 0, v19, s0
	global_load_dwordx4 v[180:183], v[4:5], off offset:912
	v_add_f64 v[14:15], v[234:235], -v[14:15]
	s_waitcnt vmcnt(0) lgkmcnt(10)
	v_mul_f64 v[16:17], v[186:187], v[182:183]
	v_fma_f64 v[21:22], v[184:185], v[180:181], -v[16:17]
	v_mul_f64 v[16:17], v[184:185], v[182:183]
	v_add_f64 v[21:22], v[228:229], -v[21:22]
	v_fma_f64 v[23:24], v[186:187], v[180:181], v[16:17]
	global_load_dwordx4 v[184:187], v[4:5], off offset:2000
	v_fma_f64 v[25:26], v[228:229], 2.0, -v[21:22]
	v_add_f64 v[23:24], v[230:231], -v[23:24]
	v_fma_f64 v[27:28], v[230:231], 2.0, -v[23:24]
	s_waitcnt vmcnt(0) lgkmcnt(8)
	v_mul_f64 v[4:5], v[190:191], v[186:187]
	v_fma_f64 v[29:30], v[188:189], v[184:185], -v[4:5]
	v_mul_f64 v[4:5], v[188:189], v[186:187]
	v_add_f64 v[29:30], v[224:225], -v[29:30]
	v_fma_f64 v[31:32], v[190:191], v[184:185], v[4:5]
	v_add_co_u32 v4, s0, 0x3000, v18
	v_add_co_ci_u32_e64 v5, s0, 0, v19, s0
	global_load_dwordx4 v[188:191], v[4:5], off offset:1040
	v_fma_f64 v[33:34], v[224:225], 2.0, -v[29:30]
	v_add_f64 v[31:32], v[226:227], -v[31:32]
	v_fma_f64 v[35:36], v[226:227], 2.0, -v[31:32]
	s_waitcnt vmcnt(0) lgkmcnt(6)
	v_mul_f64 v[4:5], v[194:195], v[190:191]
	v_fma_f64 v[37:38], v[192:193], v[188:189], -v[4:5]
	v_mul_f64 v[4:5], v[192:193], v[190:191]
	v_add_f64 v[37:38], v[220:221], -v[37:38]
	v_fma_f64 v[39:40], v[194:195], v[188:189], v[4:5]
	v_add_co_u32 v4, s0, 0x3800, v18
	v_add_co_ci_u32_e64 v5, s0, 0, v19, s0
	global_load_dwordx4 v[192:195], v[4:5], off offset:80
	v_fma_f64 v[41:42], v[220:221], 2.0, -v[37:38]
	v_add_f64 v[39:40], v[222:223], -v[39:40]
	v_fma_f64 v[43:44], v[222:223], 2.0, -v[39:40]
	s_waitcnt vmcnt(0) lgkmcnt(4)
	v_mul_f64 v[16:17], v[198:199], v[194:195]
	v_fma_f64 v[45:46], v[196:197], v[192:193], -v[16:17]
	v_mul_f64 v[16:17], v[196:197], v[194:195]
	v_add_f64 v[45:46], v[216:217], -v[45:46]
	v_fma_f64 v[47:48], v[198:199], v[192:193], v[16:17]
	global_load_dwordx4 v[196:199], v[4:5], off offset:1168
	v_fma_f64 v[49:50], v[216:217], 2.0, -v[45:46]
	v_add_f64 v[47:48], v[218:219], -v[47:48]
	v_fma_f64 v[51:52], v[218:219], 2.0, -v[47:48]
	s_waitcnt vmcnt(0) lgkmcnt(2)
	v_mul_f64 v[4:5], v[202:203], v[198:199]
	v_fma_f64 v[53:54], v[200:201], v[196:197], -v[4:5]
	v_mul_f64 v[4:5], v[200:201], v[198:199]
	v_add_f64 v[53:54], v[212:213], -v[53:54]
	v_fma_f64 v[55:56], v[202:203], v[196:197], v[4:5]
	v_add_co_u32 v4, s0, 0x4000, v18
	v_add_co_ci_u32_e64 v5, s0, 0, v19, s0
	global_load_dwordx4 v[200:203], v[4:5], off offset:208
	v_fma_f64 v[57:58], v[212:213], 2.0, -v[53:54]
	v_add_f64 v[55:56], v[214:215], -v[55:56]
	v_fma_f64 v[59:60], v[214:215], 2.0, -v[55:56]
	s_waitcnt vmcnt(0) lgkmcnt(0)
	v_mul_f64 v[4:5], v[170:171], v[202:203]
	v_fma_f64 v[61:62], v[168:169], v[200:201], -v[4:5]
	v_mul_f64 v[4:5], v[168:169], v[202:203]
	v_add_f64 v[61:62], v[0:1], -v[61:62]
	v_fma_f64 v[63:64], v[170:171], v[200:201], v[4:5]
	v_lshlrev_b64 v[4:5], 4, v[6:7]
	v_add_f64 v[6:7], v[238:239], -v[10:11]
	v_add_co_u32 v4, s0, s2, v4
	v_add_co_ci_u32_e64 v5, s0, s3, v5, s0
	v_add_co_u32 v4, s0, 0x2000, v4
	v_add_co_ci_u32_e64 v5, s0, 0, v5, s0
	global_load_dwordx4 v[16:19], v[4:5], off offset:784
	v_fma_f64 v[0:1], v[0:1], 2.0, -v[61:62]
	v_add_f64 v[63:64], v[2:3], -v[63:64]
	v_fma_f64 v[10:11], v[238:239], 2.0, -v[6:7]
	v_fma_f64 v[2:3], v[2:3], 2.0, -v[63:64]
	s_waitcnt vmcnt(0)
	v_mul_f64 v[4:5], v[206:207], v[18:19]
	v_fma_f64 v[65:66], v[204:205], v[16:17], -v[4:5]
	v_mul_f64 v[4:5], v[204:205], v[18:19]
	buffer_store_dword v16, off, s[56:59], 0 offset:396 ; 4-byte Folded Spill
	buffer_store_dword v17, off, s[56:59], 0 offset:400 ; 4-byte Folded Spill
	;; [unrolled: 1-line block ×4, first 2 shown]
	s_clause 0x1
	buffer_load_dword v68, off, s[56:59], 0
	buffer_load_dword v76, off, s[56:59], 0 offset:4
	v_fma_f64 v[18:19], v[234:235], 2.0, -v[14:15]
	v_add_f64 v[204:205], v[208:209], -v[65:66]
	v_fma_f64 v[74:75], v[206:207], v[16:17], v[4:5]
	v_add_f64 v[4:5], v[236:237], -v[8:9]
	v_fma_f64 v[16:17], v[232:233], 2.0, -v[12:13]
	s_waitcnt vmcnt(0)
	v_lshl_add_u32 v68, v68, 4, v76
	v_add_f64 v[206:207], v[210:211], -v[74:75]
	v_fma_f64 v[8:9], v[236:237], 2.0, -v[4:5]
	ds_write_b128 v68, v[4:7] offset:9248
	ds_write_b128 v20, v[8:11]
	ds_write_b128 v20, v[16:19] offset:1088
	ds_write_b128 v68, v[12:15] offset:10336
	ds_write_b128 v20, v[25:28] offset:2176
	ds_write_b128 v68, v[21:24] offset:11424
	ds_write_b128 v20, v[33:36] offset:3264
	ds_write_b128 v68, v[29:32] offset:12512
	ds_write_b128 v20, v[41:44] offset:4352
	ds_write_b128 v68, v[37:40] offset:13600
	ds_write_b128 v20, v[49:52] offset:5440
	buffer_store_dword v68, off, s[56:59], 0 offset:12 ; 4-byte Folded Spill
	ds_write_b128 v68, v[45:48] offset:14688
	ds_write_b128 v20, v[57:60] offset:6528
	;; [unrolled: 1-line block ×5, first 2 shown]
	s_and_saveexec_b32 s0, vcc_lo
	s_cbranch_execz .LBB0_9
; %bb.8:
	v_fma_f64 v[2:3], v[210:211], 2.0, -v[206:207]
	v_fma_f64 v[0:1], v[208:209], 2.0, -v[204:205]
	ds_write_b128 v20, v[0:3] offset:8704
	buffer_load_dword v0, off, s[56:59], 0 offset:12 ; 4-byte Folded Reload
	s_waitcnt vmcnt(0)
	ds_write_b128 v0, v[204:207] offset:17952
.LBB0_9:
	s_or_b32 exec_lo, exec_lo, s0
	v_add_co_u32 v12, s0, 0x4840, v67
	v_add_co_ci_u32_e64 v13, s0, 0, v240, s0
	v_add_co_u32 v4, s0, 0x4800, v67
	v_add_co_ci_u32_e64 v5, s0, 0, v240, s0
	s_waitcnt lgkmcnt(0)
	s_waitcnt_vscnt null, 0x0
	s_barrier
	buffer_gl0_inv
	global_load_dwordx4 v[4:7], v[4:5], off offset:64
	ds_read_b128 v[0:3], v20
	s_mov_b32 s38, 0x5d8e7cdc
	s_mov_b32 s24, 0x2a9d6da3
	;; [unrolled: 1-line block ×45, first 2 shown]
	s_waitcnt vmcnt(0) lgkmcnt(0)
	v_mul_f64 v[8:9], v[2:3], v[6:7]
	v_fma_f64 v[8:9], v[0:1], v[4:5], -v[8:9]
	v_mul_f64 v[0:1], v[0:1], v[6:7]
	v_fma_f64 v[10:11], v[2:3], v[4:5], v[0:1]
	global_load_dwordx4 v[4:7], v[12:13], off offset:1088
	ds_read_b128 v[0:3], v20 offset:1088
	v_add_co_u32 v12, s0, 0x5000, v67
	v_add_co_ci_u32_e64 v13, s0, 0, v240, s0
	ds_write_b128 v20, v[8:11]
	s_waitcnt vmcnt(0) lgkmcnt(1)
	v_mul_f64 v[8:9], v[2:3], v[6:7]
	v_fma_f64 v[8:9], v[0:1], v[4:5], -v[8:9]
	v_mul_f64 v[0:1], v[0:1], v[6:7]
	v_fma_f64 v[10:11], v[2:3], v[4:5], v[0:1]
	global_load_dwordx4 v[4:7], v[12:13], off offset:192
	ds_read_b128 v[0:3], v20 offset:2176
	ds_write_b128 v20, v[8:11] offset:1088
	s_waitcnt vmcnt(0) lgkmcnt(1)
	v_mul_f64 v[8:9], v[2:3], v[6:7]
	v_fma_f64 v[8:9], v[0:1], v[4:5], -v[8:9]
	v_mul_f64 v[0:1], v[0:1], v[6:7]
	v_fma_f64 v[10:11], v[2:3], v[4:5], v[0:1]
	global_load_dwordx4 v[4:7], v[12:13], off offset:1280
	ds_read_b128 v[0:3], v20 offset:3264
	v_add_co_u32 v12, s0, 0x5800, v67
	v_add_co_ci_u32_e64 v13, s0, 0, v240, s0
	ds_write_b128 v20, v[8:11] offset:2176
	s_waitcnt vmcnt(0) lgkmcnt(1)
	v_mul_f64 v[8:9], v[2:3], v[6:7]
	v_fma_f64 v[8:9], v[0:1], v[4:5], -v[8:9]
	v_mul_f64 v[0:1], v[0:1], v[6:7]
	v_fma_f64 v[10:11], v[2:3], v[4:5], v[0:1]
	global_load_dwordx4 v[4:7], v[12:13], off offset:320
	ds_read_b128 v[0:3], v20 offset:4352
	ds_write_b128 v20, v[8:11] offset:3264
	s_waitcnt vmcnt(0) lgkmcnt(1)
	v_mul_f64 v[8:9], v[2:3], v[6:7]
	v_fma_f64 v[8:9], v[0:1], v[4:5], -v[8:9]
	v_mul_f64 v[0:1], v[0:1], v[6:7]
	v_fma_f64 v[10:11], v[2:3], v[4:5], v[0:1]
	global_load_dwordx4 v[4:7], v[12:13], off offset:1408
	ds_read_b128 v[0:3], v20 offset:5440
	v_add_co_u32 v12, s0, 0x6000, v67
	v_add_co_ci_u32_e64 v13, s0, 0, v240, s0
	ds_write_b128 v20, v[8:11] offset:4352
	;; [unrolled: 18-line block ×5, first 2 shown]
	s_waitcnt vmcnt(0) lgkmcnt(1)
	v_mul_f64 v[8:9], v[2:3], v[6:7]
	v_fma_f64 v[8:9], v[0:1], v[4:5], -v[8:9]
	v_mul_f64 v[0:1], v[0:1], v[6:7]
	v_fma_f64 v[10:11], v[2:3], v[4:5], v[0:1]
	global_load_dwordx4 v[4:7], v[12:13], off offset:832
	ds_read_b128 v[0:3], v20 offset:13056
	ds_write_b128 v20, v[8:11] offset:11968
	s_waitcnt vmcnt(0) lgkmcnt(1)
	v_mul_f64 v[8:9], v[2:3], v[6:7]
	v_fma_f64 v[8:9], v[0:1], v[4:5], -v[8:9]
	v_mul_f64 v[0:1], v[0:1], v[6:7]
	v_fma_f64 v[10:11], v[2:3], v[4:5], v[0:1]
	global_load_dwordx4 v[4:7], v[12:13], off offset:1920
	ds_read_b128 v[0:3], v20 offset:14144
	ds_write_b128 v20, v[8:11] offset:13056
	s_waitcnt vmcnt(0) lgkmcnt(1)
	v_mul_f64 v[8:9], v[2:3], v[6:7]
	v_fma_f64 v[8:9], v[0:1], v[4:5], -v[8:9]
	v_mul_f64 v[0:1], v[0:1], v[6:7]
	v_fma_f64 v[10:11], v[2:3], v[4:5], v[0:1]
	v_add_co_u32 v4, s0, 0x8000, v67
	v_add_co_ci_u32_e64 v5, s0, 0, v240, s0
	ds_read_b128 v[0:3], v20 offset:15232
	v_add_co_u32 v12, s0, 0x8800, v67
	global_load_dwordx4 v[4:7], v[4:5], off offset:960
	v_add_co_ci_u32_e64 v13, s0, 0, v240, s0
	s_mov_b32 s0, s6
	ds_write_b128 v20, v[8:11] offset:14144
	s_waitcnt vmcnt(0) lgkmcnt(1)
	v_mul_f64 v[8:9], v[2:3], v[6:7]
	v_fma_f64 v[8:9], v[0:1], v[4:5], -v[8:9]
	v_mul_f64 v[0:1], v[0:1], v[6:7]
	v_fma_f64 v[10:11], v[2:3], v[4:5], v[0:1]
	global_load_dwordx4 v[4:7], v[12:13], off
	ds_read_b128 v[0:3], v20 offset:16320
	ds_write_b128 v20, v[8:11] offset:15232
	s_waitcnt vmcnt(0) lgkmcnt(1)
	v_mul_f64 v[8:9], v[2:3], v[6:7]
	v_fma_f64 v[8:9], v[0:1], v[4:5], -v[8:9]
	v_mul_f64 v[0:1], v[0:1], v[6:7]
	v_fma_f64 v[10:11], v[2:3], v[4:5], v[0:1]
	global_load_dwordx4 v[4:7], v[12:13], off offset:1088
	ds_read_b128 v[0:3], v20 offset:17408
	ds_write_b128 v20, v[8:11] offset:16320
	s_waitcnt vmcnt(0) lgkmcnt(1)
	v_mul_f64 v[8:9], v[2:3], v[6:7]
	v_fma_f64 v[8:9], v[0:1], v[4:5], -v[8:9]
	v_mul_f64 v[0:1], v[0:1], v[6:7]
	v_fma_f64 v[10:11], v[2:3], v[4:5], v[0:1]
	ds_write_b128 v20, v[8:11] offset:17408
	s_waitcnt lgkmcnt(0)
	s_barrier
	buffer_gl0_inv
	ds_read_b128 v[4:7], v20
	ds_read_b128 v[8:11], v20 offset:1088
	ds_read_b128 v[12:15], v20 offset:2176
	;; [unrolled: 1-line block ×16, first 2 shown]
	s_waitcnt lgkmcnt(0)
	s_barrier
	buffer_gl0_inv
	v_add_f64 v[27:28], v[6:7], v[10:11]
	v_add_f64 v[25:26], v[4:5], v[8:9]
	;; [unrolled: 1-line block ×32, first 2 shown]
	v_add_f64 v[10:11], v[10:11], -v[23:24]
	v_add_f64 v[208:209], v[25:26], v[21:22]
	v_add_f64 v[25:26], v[8:9], v[21:22]
	v_add_f64 v[8:9], v[8:9], -v[21:22]
	v_mul_f64 v[29:30], v[27:28], s[40:41]
	v_mul_f64 v[21:22], v[10:11], s[38:39]
	v_mul_f64 v[33:34], v[10:11], s[24:25]
	v_mul_f64 v[41:42], v[10:11], s[18:19]
	v_mul_f64 v[49:50], v[10:11], s[6:7]
	v_mul_f64 v[57:58], v[10:11], s[12:13]
	v_mul_f64 v[65:66], v[10:11], s[28:29]
	v_mul_f64 v[78:79], v[10:11], s[44:45]
	v_mul_f64 v[10:11], v[10:11], s[50:51]
	v_mul_f64 v[37:38], v[27:28], s[26:27]
	v_mul_f64 v[45:46], v[27:28], s[20:21]
	v_mul_f64 v[53:54], v[27:28], s[2:3]
	v_mul_f64 v[61:62], v[27:28], s[14:15]
	v_mul_f64 v[74:75], v[27:28], s[34:35]
	v_mul_f64 v[82:83], v[27:28], s[46:47]
	v_mul_f64 v[27:28], v[27:28], s[52:53]
	v_fma_f64 v[31:32], v[8:9], s[42:43], v[29:30]
	v_fma_f64 v[23:24], v[25:26], s[40:41], v[21:22]
	v_fma_f64 v[21:22], v[25:26], s[40:41], -v[21:22]
	v_fma_f64 v[35:36], v[25:26], s[26:27], v[33:34]
	v_fma_f64 v[33:34], v[25:26], s[26:27], -v[33:34]
	;; [unrolled: 2-line block ×8, first 2 shown]
	v_fma_f64 v[29:30], v[8:9], s[38:39], v[29:30]
	v_fma_f64 v[39:40], v[8:9], s[30:31], v[37:38]
	;; [unrolled: 1-line block ×6, first 2 shown]
	v_add_f64 v[23:24], v[4:5], v[23:24]
	v_add_f64 v[21:22], v[4:5], v[21:22]
	;; [unrolled: 1-line block ×8, first 2 shown]
	v_fma_f64 v[53:54], v[8:9], s[6:7], v[53:54]
	v_add_f64 v[59:60], v[4:5], v[59:60]
	v_fma_f64 v[63:64], v[8:9], s[16:17], v[61:62]
	v_add_f64 v[57:58], v[4:5], v[57:58]
	;; [unrolled: 2-line block ×9, first 2 shown]
	v_add_f64 v[14:15], v[14:15], -v[18:19]
	v_add_f64 v[31:32], v[6:7], v[31:32]
	v_add_f64 v[29:30], v[6:7], v[29:30]
	v_add_f64 v[39:40], v[6:7], v[39:40]
	v_add_f64 v[37:38], v[6:7], v[37:38]
	v_add_f64 v[47:48], v[6:7], v[47:48]
	v_add_f64 v[45:46], v[6:7], v[45:46]
	v_add_f64 v[55:56], v[6:7], v[55:56]
	v_add_f64 v[53:54], v[6:7], v[53:54]
	v_add_f64 v[63:64], v[6:7], v[63:64]
	v_add_f64 v[61:62], v[6:7], v[61:62]
	v_add_f64 v[76:77], v[6:7], v[76:77]
	v_add_f64 v[74:75], v[6:7], v[74:75]
	v_add_f64 v[93:94], v[6:7], v[93:94]
	v_add_f64 v[82:83], v[6:7], v[82:83]
	v_add_f64 v[170:171], v[6:7], v[170:171]
	v_add_f64 v[6:7], v[6:7], v[8:9]
	v_add_f64 v[8:9], v[12:13], v[16:17]
	v_add_f64 v[12:13], v[12:13], -v[16:17]
	v_mul_f64 v[16:17], v[14:15], s[24:25]
	v_fma_f64 v[18:19], v[8:9], s[26:27], v[16:17]
	v_fma_f64 v[16:17], v[8:9], s[26:27], -v[16:17]
	v_add_f64 v[18:19], v[18:19], v[23:24]
	v_mul_f64 v[23:24], v[10:11], s[26:27]
	v_add_f64 v[16:17], v[16:17], v[21:22]
	v_fma_f64 v[25:26], v[12:13], s[30:31], v[23:24]
	v_fma_f64 v[21:22], v[12:13], s[24:25], v[23:24]
	v_mul_f64 v[23:24], v[14:15], s[6:7]
	v_add_f64 v[25:26], v[25:26], v[31:32]
	v_add_f64 v[21:22], v[21:22], v[29:30]
	v_fma_f64 v[27:28], v[8:9], s[2:3], v[23:24]
	v_fma_f64 v[23:24], v[8:9], s[2:3], -v[23:24]
	v_mul_f64 v[29:30], v[10:11], s[2:3]
	v_add_f64 v[27:28], v[27:28], v[35:36]
	v_add_f64 v[23:24], v[23:24], v[33:34]
	v_mul_f64 v[33:34], v[14:15], s[28:29]
	v_fma_f64 v[31:32], v[12:13], s[0:1], v[29:30]
	v_fma_f64 v[29:30], v[12:13], s[6:7], v[29:30]
	v_fma_f64 v[35:36], v[8:9], s[34:35], v[33:34]
	v_fma_f64 v[33:34], v[8:9], s[34:35], -v[33:34]
	v_add_f64 v[29:30], v[29:30], v[37:38]
	v_mul_f64 v[37:38], v[10:11], s[34:35]
	v_add_f64 v[31:32], v[31:32], v[39:40]
	v_add_f64 v[35:36], v[35:36], v[43:44]
	v_add_f64 v[33:34], v[33:34], v[41:42]
	v_mul_f64 v[41:42], v[14:15], s[50:51]
	v_fma_f64 v[39:40], v[12:13], s[36:37], v[37:38]
	v_fma_f64 v[37:38], v[12:13], s[28:29], v[37:38]
	v_fma_f64 v[43:44], v[8:9], s[52:53], v[41:42]
	v_fma_f64 v[41:42], v[8:9], s[52:53], -v[41:42]
	v_add_f64 v[37:38], v[37:38], v[45:46]
	v_mul_f64 v[45:46], v[10:11], s[52:53]
	v_add_f64 v[39:40], v[39:40], v[47:48]
	;; [unrolled: 10-line block ×4, first 2 shown]
	v_add_f64 v[59:60], v[59:60], v[67:68]
	v_add_f64 v[57:58], v[57:58], v[65:66]
	v_mul_f64 v[65:66], v[14:15], s[22:23]
	v_fma_f64 v[63:64], v[12:13], s[12:13], v[61:62]
	v_fma_f64 v[61:62], v[12:13], s[16:17], v[61:62]
	v_mul_f64 v[14:15], v[14:15], s[42:43]
	v_fma_f64 v[67:68], v[8:9], s[20:21], v[65:66]
	v_fma_f64 v[65:66], v[8:9], s[20:21], -v[65:66]
	v_add_f64 v[61:62], v[61:62], v[74:75]
	v_mul_f64 v[74:75], v[10:11], s[20:21]
	v_mul_f64 v[10:11], v[10:11], s[40:41]
	v_add_f64 v[63:64], v[63:64], v[76:77]
	v_add_f64 v[67:68], v[67:68], v[80:81]
	;; [unrolled: 1-line block ×3, first 2 shown]
	v_fma_f64 v[78:79], v[8:9], s[40:41], v[14:15]
	v_fma_f64 v[8:9], v[8:9], s[40:41], -v[14:15]
	v_fma_f64 v[80:81], v[12:13], s[38:39], v[10:11]
	v_fma_f64 v[76:77], v[12:13], s[18:19], v[74:75]
	;; [unrolled: 1-line block ×3, first 2 shown]
	v_add_f64 v[78:79], v[78:79], v[168:169]
	v_add_f64 v[4:5], v[8:9], v[4:5]
	v_fma_f64 v[8:9], v[12:13], s[42:43], v[10:11]
	v_add_f64 v[10:11], v[254:255], v[2:3]
	v_add_f64 v[2:3], v[254:255], -v[2:3]
	v_add_f64 v[74:75], v[74:75], v[82:83]
	v_add_f64 v[76:77], v[76:77], v[93:94]
	;; [unrolled: 1-line block ×3, first 2 shown]
	v_add_f64 v[170:171], v[246:247], -v[250:251]
	v_add_f64 v[93:94], v[246:247], v[250:251]
	v_add_f64 v[168:169], v[244:245], -v[248:249]
	v_add_f64 v[6:7], v[8:9], v[6:7]
	v_add_f64 v[8:9], v[252:253], v[0:1]
	v_mul_f64 v[12:13], v[2:3], s[18:19]
	v_add_f64 v[0:1], v[252:253], -v[0:1]
	v_fma_f64 v[14:15], v[8:9], s[20:21], v[12:13]
	v_fma_f64 v[12:13], v[8:9], s[20:21], -v[12:13]
	v_add_f64 v[14:15], v[14:15], v[18:19]
	v_mul_f64 v[18:19], v[10:11], s[20:21]
	v_add_f64 v[12:13], v[12:13], v[16:17]
	v_fma_f64 v[82:83], v[0:1], s[22:23], v[18:19]
	v_fma_f64 v[16:17], v[0:1], s[18:19], v[18:19]
	v_mul_f64 v[18:19], v[2:3], s[28:29]
	v_add_f64 v[25:26], v[82:83], v[25:26]
	v_add_f64 v[16:17], v[16:17], v[21:22]
	v_fma_f64 v[21:22], v[8:9], s[34:35], v[18:19]
	v_fma_f64 v[18:19], v[8:9], s[34:35], -v[18:19]
	v_add_f64 v[21:22], v[21:22], v[27:28]
	v_mul_f64 v[27:28], v[10:11], s[34:35]
	v_add_f64 v[18:19], v[18:19], v[23:24]
	v_fma_f64 v[82:83], v[0:1], s[36:37], v[27:28]
	v_fma_f64 v[23:24], v[0:1], s[28:29], v[27:28]
	v_mul_f64 v[27:28], v[2:3], s[54:55]
	v_add_f64 v[31:32], v[82:83], v[31:32]
	v_add_f64 v[23:24], v[23:24], v[29:30]
	;; [unrolled: 10-line block ×5, first 2 shown]
	v_fma_f64 v[53:54], v[8:9], s[40:41], v[51:52]
	v_fma_f64 v[51:52], v[8:9], s[40:41], -v[51:52]
	v_add_f64 v[53:54], v[53:54], v[59:60]
	v_mul_f64 v[59:60], v[10:11], s[40:41]
	v_add_f64 v[51:52], v[51:52], v[57:58]
	v_fma_f64 v[82:83], v[0:1], s[42:43], v[59:60]
	v_fma_f64 v[57:58], v[0:1], s[38:39], v[59:60]
	v_mul_f64 v[59:60], v[2:3], s[6:7]
	v_mul_f64 v[2:3], v[2:3], s[44:45]
	v_add_f64 v[63:64], v[82:83], v[63:64]
	v_add_f64 v[57:58], v[57:58], v[61:62]
	v_fma_f64 v[61:62], v[8:9], s[2:3], v[59:60]
	v_fma_f64 v[59:60], v[8:9], s[2:3], -v[59:60]
	v_add_f64 v[61:62], v[61:62], v[67:68]
	v_mul_f64 v[67:68], v[10:11], s[2:3]
	v_add_f64 v[59:60], v[59:60], v[65:66]
	v_mul_f64 v[10:11], v[10:11], s[46:47]
	v_fma_f64 v[82:83], v[0:1], s[0:1], v[67:68]
	v_fma_f64 v[65:66], v[0:1], s[6:7], v[67:68]
	v_fma_f64 v[67:68], v[8:9], s[46:47], v[2:3]
	v_fma_f64 v[2:3], v[8:9], s[46:47], -v[2:3]
	v_add_f64 v[76:77], v[82:83], v[76:77]
	v_add_f64 v[65:66], v[65:66], v[74:75]
	;; [unrolled: 1-line block ×3, first 2 shown]
	v_fma_f64 v[74:75], v[0:1], s[48:49], v[10:11]
	v_add_f64 v[78:79], v[2:3], v[4:5]
	v_fma_f64 v[0:1], v[0:1], s[44:45], v[10:11]
	v_add_f64 v[82:83], v[244:245], v[248:249]
	v_mul_f64 v[4:5], v[170:171], s[6:7]
	v_add_f64 v[74:75], v[74:75], v[80:81]
	v_add_f64 v[80:81], v[0:1], v[6:7]
	v_mul_f64 v[6:7], v[93:94], s[2:3]
	v_fma_f64 v[0:1], v[82:83], s[2:3], v[4:5]
	v_fma_f64 v[4:5], v[82:83], s[2:3], -v[4:5]
	v_fma_f64 v[2:3], v[168:169], s[0:1], v[6:7]
	v_fma_f64 v[6:7], v[168:169], s[6:7], v[6:7]
	v_add_f64 v[4:5], v[4:5], v[12:13]
	v_mul_f64 v[12:13], v[170:171], s[50:51]
	v_add_f64 v[0:1], v[0:1], v[14:15]
	v_mul_f64 v[14:15], v[93:94], s[52:53]
	v_add_f64 v[2:3], v[2:3], v[25:26]
	v_add_f64 v[6:7], v[6:7], v[16:17]
	v_fma_f64 v[8:9], v[82:83], s[52:53], v[12:13]
	v_fma_f64 v[12:13], v[82:83], s[52:53], -v[12:13]
	v_fma_f64 v[10:11], v[168:169], s[54:55], v[14:15]
	v_fma_f64 v[14:15], v[168:169], s[50:51], v[14:15]
	v_add_f64 v[8:9], v[8:9], v[21:22]
	v_mul_f64 v[21:22], v[170:171], s[16:17]
	v_add_f64 v[10:11], v[10:11], v[31:32]
	v_add_f64 v[14:15], v[14:15], v[23:24]
	v_mul_f64 v[23:24], v[93:94], s[14:15]
	v_add_f64 v[12:13], v[12:13], v[18:19]
	v_fma_f64 v[16:17], v[82:83], s[14:15], v[21:22]
	v_fma_f64 v[21:22], v[82:83], s[14:15], -v[21:22]
	v_fma_f64 v[18:19], v[168:169], s[12:13], v[23:24]
	v_fma_f64 v[23:24], v[168:169], s[16:17], v[23:24]
	v_add_f64 v[16:17], v[16:17], v[29:30]
	v_add_f64 v[21:22], v[21:22], v[27:28]
	v_mul_f64 v[27:28], v[170:171], s[42:43]
	v_mul_f64 v[29:30], v[93:94], s[40:41]
	v_add_f64 v[18:19], v[18:19], v[39:40]
	v_add_f64 v[23:24], v[23:24], v[33:34]
	v_mul_f64 v[33:34], v[170:171], s[44:45]
	v_fma_f64 v[25:26], v[82:83], s[40:41], v[27:28]
	v_fma_f64 v[27:28], v[82:83], s[40:41], -v[27:28]
	v_fma_f64 v[31:32], v[168:169], s[38:39], v[29:30]
	v_add_f64 v[25:26], v[25:26], v[37:38]
	v_add_f64 v[246:247], v[27:28], v[35:36]
	v_fma_f64 v[27:28], v[168:169], s[42:43], v[29:30]
	v_add_f64 v[244:245], v[31:32], v[47:48]
	v_mul_f64 v[35:36], v[93:94], s[46:47]
	v_add_f64 v[248:249], v[27:28], v[41:42]
	v_mul_f64 v[27:28], v[170:171], s[18:19]
	v_mul_f64 v[41:42], v[170:171], s[36:37]
	v_fma_f64 v[29:30], v[82:83], s[20:21], v[27:28]
	v_fma_f64 v[27:28], v[82:83], s[20:21], -v[27:28]
	v_fma_f64 v[37:38], v[82:83], s[34:35], v[41:42]
	v_fma_f64 v[41:42], v[82:83], s[34:35], -v[41:42]
	v_add_f64 v[250:251], v[29:30], v[45:46]
	v_mul_f64 v[29:30], v[93:94], s[20:21]
	v_add_f64 v[254:255], v[27:28], v[43:44]
	v_mul_f64 v[43:44], v[93:94], s[34:35]
	v_add_f64 v[37:38], v[37:38], v[61:62]
	v_add_f64 v[41:42], v[41:42], v[59:60]
	v_fma_f64 v[27:28], v[168:169], s[18:19], v[29:30]
	v_fma_f64 v[31:32], v[168:169], s[22:23], v[29:30]
	;; [unrolled: 1-line block ×4, first 2 shown]
	v_fma_f64 v[33:34], v[82:83], s[46:47], -v[33:34]
	v_fma_f64 v[43:44], v[168:169], s[36:37], v[43:44]
	v_add_f64 v[27:28], v[27:28], v[49:50]
	v_mul_f64 v[49:50], v[170:171], s[30:31]
	v_add_f64 v[39:40], v[39:40], v[76:77]
	v_add_f64 v[76:77], v[238:239], -v[242:243]
	v_add_f64 v[252:253], v[31:32], v[55:56]
	v_add_f64 v[29:30], v[29:30], v[53:54]
	v_fma_f64 v[31:32], v[168:169], s[48:49], v[35:36]
	v_add_f64 v[33:34], v[33:34], v[51:52]
	v_fma_f64 v[35:36], v[168:169], s[44:45], v[35:36]
	v_mul_f64 v[51:52], v[93:94], s[26:27]
	v_add_f64 v[53:54], v[236:237], v[240:241]
	v_add_f64 v[43:44], v[43:44], v[65:66]
	v_fma_f64 v[45:46], v[82:83], s[26:27], v[49:50]
	v_fma_f64 v[49:50], v[82:83], s[26:27], -v[49:50]
	v_mul_f64 v[55:56], v[76:77], s[12:13]
	v_add_f64 v[31:32], v[31:32], v[63:64]
	v_add_f64 v[35:36], v[35:36], v[57:58]
	v_fma_f64 v[47:48], v[168:169], s[24:25], v[51:52]
	v_fma_f64 v[51:52], v[168:169], s[30:31], v[51:52]
	v_add_f64 v[45:46], v[45:46], v[67:68]
	v_add_f64 v[67:68], v[238:239], v[242:243]
	v_fma_f64 v[57:58], v[53:54], s[14:15], v[55:56]
	v_add_f64 v[49:50], v[49:50], v[78:79]
	v_add_f64 v[47:48], v[47:48], v[74:75]
	v_add_f64 v[74:75], v[236:237], -v[240:241]
	v_add_f64 v[51:52], v[51:52], v[80:81]
	v_add_f64 v[236:237], v[57:58], v[0:1]
	v_mul_f64 v[0:1], v[67:68], s[14:15]
	v_fma_f64 v[57:58], v[74:75], s[16:17], v[0:1]
	v_fma_f64 v[0:1], v[74:75], s[12:13], v[0:1]
	v_add_f64 v[170:171], v[57:58], v[2:3]
	v_fma_f64 v[2:3], v[53:54], s[14:15], -v[55:56]
	v_add_f64 v[242:243], v[0:1], v[6:7]
	v_mul_f64 v[0:1], v[76:77], s[48:49]
	v_add_f64 v[240:241], v[2:3], v[4:5]
	v_fma_f64 v[2:3], v[53:54], s[46:47], v[0:1]
	v_fma_f64 v[0:1], v[53:54], s[46:47], -v[0:1]
	v_add_f64 v[168:169], v[2:3], v[8:9]
	v_mul_f64 v[2:3], v[67:68], s[46:47]
	v_add_f64 v[63:64], v[0:1], v[12:13]
	v_fma_f64 v[4:5], v[74:75], s[44:45], v[2:3]
	v_fma_f64 v[0:1], v[74:75], s[48:49], v[2:3]
	v_mul_f64 v[2:3], v[76:77], s[30:31]
	v_add_f64 v[61:62], v[4:5], v[10:11]
	v_add_f64 v[65:66], v[0:1], v[14:15]
	v_fma_f64 v[0:1], v[53:54], s[26:27], v[2:3]
	v_mul_f64 v[4:5], v[67:68], s[26:27]
	v_fma_f64 v[2:3], v[53:54], s[26:27], -v[2:3]
	v_mul_f64 v[14:15], v[76:77], s[38:39]
	v_add_f64 v[59:60], v[0:1], v[16:17]
	v_fma_f64 v[0:1], v[74:75], s[24:25], v[4:5]
	v_fma_f64 v[4:5], v[74:75], s[30:31], v[4:5]
	v_add_f64 v[2:3], v[2:3], v[21:22]
	v_fma_f64 v[10:11], v[53:54], s[40:41], v[14:15]
	v_fma_f64 v[14:15], v[53:54], s[40:41], -v[14:15]
	v_add_f64 v[0:1], v[0:1], v[18:19]
	v_add_f64 v[57:58], v[4:5], v[23:24]
	v_mul_f64 v[4:5], v[76:77], s[18:19]
	v_add_f64 v[10:11], v[10:11], v[37:38]
	v_add_f64 v[14:15], v[14:15], v[41:42]
	v_fma_f64 v[6:7], v[53:54], s[20:21], v[4:5]
	v_fma_f64 v[4:5], v[53:54], s[20:21], -v[4:5]
	v_add_f64 v[55:56], v[6:7], v[25:26]
	v_mul_f64 v[6:7], v[67:68], s[20:21]
	v_add_f64 v[246:247], v[4:5], v[246:247]
	v_fma_f64 v[4:5], v[74:75], s[18:19], v[6:7]
	v_fma_f64 v[8:9], v[74:75], s[22:23], v[6:7]
	v_add_f64 v[248:249], v[4:5], v[248:249]
	v_mul_f64 v[4:5], v[76:77], s[50:51]
	v_add_f64 v[244:245], v[8:9], v[244:245]
	v_fma_f64 v[6:7], v[53:54], s[52:53], v[4:5]
	v_fma_f64 v[4:5], v[53:54], s[52:53], -v[4:5]
	v_add_f64 v[25:26], v[6:7], v[250:251]
	v_mul_f64 v[6:7], v[67:68], s[52:53]
	v_add_f64 v[21:22], v[4:5], v[254:255]
	v_add_f64 v[250:251], v[228:229], v[232:233]
	;; [unrolled: 1-line block ×3, first 2 shown]
	v_fma_f64 v[8:9], v[74:75], s[54:55], v[6:7]
	v_fma_f64 v[4:5], v[74:75], s[50:51], v[6:7]
	v_mul_f64 v[6:7], v[76:77], s[0:1]
	v_add_f64 v[18:19], v[8:9], v[252:253]
	v_add_f64 v[23:24], v[4:5], v[27:28]
	v_fma_f64 v[4:5], v[53:54], s[2:3], v[6:7]
	v_mul_f64 v[8:9], v[67:68], s[2:3]
	v_mul_f64 v[27:28], v[67:68], s[40:41]
	v_fma_f64 v[6:7], v[53:54], s[2:3], -v[6:7]
	v_add_f64 v[252:253], v[228:229], -v[232:233]
	v_add_f64 v[16:17], v[4:5], v[29:30]
	v_fma_f64 v[4:5], v[74:75], s[6:7], v[8:9]
	v_fma_f64 v[8:9], v[74:75], s[0:1], v[8:9]
	;; [unrolled: 1-line block ×4, first 2 shown]
	v_add_f64 v[6:7], v[6:7], v[33:34]
	v_add_f64 v[4:5], v[4:5], v[31:32]
	v_add_f64 v[8:9], v[8:9], v[35:36]
	v_add_f64 v[12:13], v[12:13], v[39:40]
	v_add_f64 v[35:36], v[27:28], v[43:44]
	v_mul_f64 v[27:28], v[76:77], s[28:29]
	v_fma_f64 v[29:30], v[53:54], s[34:35], v[27:28]
	v_fma_f64 v[27:28], v[53:54], s[34:35], -v[27:28]
	v_add_f64 v[41:42], v[29:30], v[45:46]
	v_mul_f64 v[29:30], v[67:68], s[34:35]
	v_add_f64 v[45:46], v[27:28], v[49:50]
	v_add_f64 v[67:68], v[230:231], -v[234:235]
	v_fma_f64 v[27:28], v[74:75], s[28:29], v[29:30]
	v_fma_f64 v[31:32], v[74:75], s[36:37], v[29:30]
	v_mul_f64 v[37:38], v[67:68], s[44:45]
	v_add_f64 v[53:54], v[27:28], v[51:52]
	v_mul_f64 v[27:28], v[67:68], s[28:29]
	v_add_f64 v[43:44], v[31:32], v[47:48]
	v_mul_f64 v[47:48], v[254:255], s[46:47]
	v_fma_f64 v[29:30], v[250:251], s[34:35], v[27:28]
	v_fma_f64 v[27:28], v[250:251], s[34:35], -v[27:28]
	v_add_f64 v[236:237], v[29:30], v[236:237]
	v_mul_f64 v[29:30], v[254:255], s[34:35]
	v_add_f64 v[240:241], v[27:28], v[240:241]
	v_fma_f64 v[27:28], v[252:253], s[28:29], v[29:30]
	v_fma_f64 v[31:32], v[252:253], s[36:37], v[29:30]
	v_add_f64 v[242:243], v[27:28], v[242:243]
	v_mul_f64 v[27:28], v[67:68], s[16:17]
	v_add_f64 v[238:239], v[31:32], v[170:171]
	v_fma_f64 v[29:30], v[250:251], s[14:15], v[27:28]
	v_fma_f64 v[27:28], v[250:251], s[14:15], -v[27:28]
	v_add_f64 v[39:40], v[29:30], v[168:169]
	v_mul_f64 v[29:30], v[254:255], s[14:15]
	v_add_f64 v[230:231], v[27:28], v[63:64]
	v_fma_f64 v[27:28], v[252:253], s[16:17], v[29:30]
	v_fma_f64 v[31:32], v[252:253], s[12:13], v[29:30]
	v_add_f64 v[234:235], v[27:28], v[65:66]
	v_mul_f64 v[27:28], v[67:68], s[38:39]
	v_add_f64 v[228:229], v[31:32], v[61:62]
	v_fma_f64 v[29:30], v[250:251], s[40:41], v[27:28]
	v_fma_f64 v[27:28], v[250:251], s[40:41], -v[27:28]
	v_add_f64 v[31:32], v[29:30], v[59:60]
	v_mul_f64 v[29:30], v[254:255], s[40:41]
	v_add_f64 v[2:3], v[27:28], v[2:3]
	v_fma_f64 v[33:34], v[252:253], s[42:43], v[29:30]
	v_fma_f64 v[27:28], v[252:253], s[38:39], v[29:30]
	;; [unrolled: 1-line block ×3, first 2 shown]
	v_fma_f64 v[37:38], v[250:251], s[46:47], -v[37:38]
	v_add_f64 v[0:1], v[33:34], v[0:1]
	v_fma_f64 v[33:34], v[252:253], s[48:49], v[47:48]
	v_fma_f64 v[47:48], v[252:253], s[44:45], v[47:48]
	v_add_f64 v[29:30], v[29:30], v[55:56]
	v_add_f64 v[27:28], v[27:28], v[57:58]
	;; [unrolled: 1-line block ×5, first 2 shown]
	v_mul_f64 v[47:48], v[67:68], s[0:1]
	v_fma_f64 v[49:50], v[250:251], s[2:3], v[47:48]
	v_fma_f64 v[47:48], v[250:251], s[2:3], -v[47:48]
	v_add_f64 v[25:26], v[49:50], v[25:26]
	v_mul_f64 v[49:50], v[254:255], s[2:3]
	v_add_f64 v[21:22], v[47:48], v[21:22]
	v_fma_f64 v[51:52], v[252:253], s[6:7], v[49:50]
	v_fma_f64 v[47:48], v[252:253], s[0:1], v[49:50]
	v_mul_f64 v[49:50], v[67:68], s[24:25]
	v_add_f64 v[18:19], v[51:52], v[18:19]
	v_add_f64 v[23:24], v[47:48], v[23:24]
	v_fma_f64 v[47:48], v[250:251], s[26:27], v[49:50]
	v_mul_f64 v[51:52], v[254:255], s[26:27]
	v_add_f64 v[16:17], v[47:48], v[16:17]
	v_fma_f64 v[47:48], v[252:253], s[30:31], v[51:52]
	v_add_f64 v[47:48], v[47:48], v[4:5]
	v_fma_f64 v[4:5], v[250:251], s[26:27], -v[49:50]
	v_add_f64 v[49:50], v[4:5], v[6:7]
	v_fma_f64 v[4:5], v[252:253], s[24:25], v[51:52]
	v_add_f64 v[51:52], v[4:5], v[8:9]
	v_mul_f64 v[8:9], v[67:68], s[50:51]
	v_fma_f64 v[4:5], v[250:251], s[52:53], v[8:9]
	v_fma_f64 v[8:9], v[250:251], s[52:53], -v[8:9]
	v_add_f64 v[4:5], v[4:5], v[10:11]
	v_mul_f64 v[10:11], v[254:255], s[52:53]
	v_add_f64 v[8:9], v[8:9], v[14:15]
	v_fma_f64 v[6:7], v[252:253], s[54:55], v[10:11]
	v_fma_f64 v[10:11], v[252:253], s[50:51], v[10:11]
	v_add_f64 v[6:7], v[6:7], v[12:13]
	v_add_f64 v[10:11], v[10:11], v[35:36]
	v_mul_f64 v[35:36], v[67:68], s[22:23]
	v_add_f64 v[67:68], v[222:223], -v[226:227]
	v_fma_f64 v[12:13], v[250:251], s[20:21], v[35:36]
	v_mul_f64 v[55:56], v[67:68], s[44:45]
	v_fma_f64 v[35:36], v[250:251], s[20:21], -v[35:36]
	v_add_f64 v[12:13], v[12:13], v[41:42]
	v_mul_f64 v[41:42], v[254:255], s[20:21]
	v_add_f64 v[35:36], v[35:36], v[45:46]
	v_add_f64 v[45:46], v[220:221], -v[224:225]
	v_fma_f64 v[14:15], v[252:253], s[18:19], v[41:42]
	v_fma_f64 v[41:42], v[252:253], s[22:23], v[41:42]
	v_add_f64 v[14:15], v[14:15], v[43:44]
	v_add_f64 v[43:44], v[220:221], v[224:225]
	;; [unrolled: 1-line block ×4, first 2 shown]
	v_fma_f64 v[57:58], v[43:44], s[46:47], v[55:56]
	v_fma_f64 v[55:56], v[43:44], s[46:47], -v[55:56]
	v_add_f64 v[170:171], v[57:58], v[236:237]
	v_mul_f64 v[57:58], v[53:54], s[46:47]
	v_add_f64 v[65:66], v[55:56], v[240:241]
	v_fma_f64 v[59:60], v[45:46], s[48:49], v[57:58]
	v_fma_f64 v[55:56], v[45:46], s[44:45], v[57:58]
	v_mul_f64 v[57:58], v[67:68], s[22:23]
	v_add_f64 v[63:64], v[59:60], v[238:239]
	v_add_f64 v[168:169], v[55:56], v[242:243]
	v_fma_f64 v[55:56], v[43:44], s[20:21], v[57:58]
	v_fma_f64 v[57:58], v[43:44], s[20:21], -v[57:58]
	v_add_f64 v[61:62], v[55:56], v[39:40]
	v_mul_f64 v[39:40], v[53:54], s[20:21]
	v_add_f64 v[57:58], v[57:58], v[230:231]
	v_fma_f64 v[55:56], v[45:46], s[18:19], v[39:40]
	v_fma_f64 v[39:40], v[45:46], s[22:23], v[39:40]
	v_add_f64 v[55:56], v[55:56], v[228:229]
	v_add_f64 v[59:60], v[39:40], v[234:235]
	v_mul_f64 v[39:40], v[67:68], s[6:7]
	v_fma_f64 v[74:75], v[43:44], s[2:3], v[39:40]
	v_add_f64 v[234:235], v[74:75], v[31:32]
	v_mul_f64 v[31:32], v[53:54], s[2:3]
	v_fma_f64 v[74:75], v[45:46], s[0:1], v[31:32]
	v_add_f64 v[228:229], v[74:75], v[0:1]
	v_fma_f64 v[0:1], v[43:44], s[2:3], -v[39:40]
	v_add_f64 v[230:231], v[0:1], v[2:3]
	v_fma_f64 v[0:1], v[45:46], s[6:7], v[31:32]
	v_mul_f64 v[2:3], v[67:68], s[36:37]
	v_mul_f64 v[31:32], v[67:68], s[38:39]
	v_add_f64 v[236:237], v[0:1], v[27:28]
	v_fma_f64 v[0:1], v[43:44], s[34:35], v[2:3]
	v_mul_f64 v[27:28], v[53:54], s[34:35]
	v_fma_f64 v[2:3], v[43:44], s[34:35], -v[2:3]
	v_add_f64 v[39:40], v[0:1], v[29:30]
	v_fma_f64 v[0:1], v[45:46], s[28:29], v[27:28]
	v_fma_f64 v[27:28], v[45:46], s[36:37], v[27:28]
	v_add_f64 v[2:3], v[2:3], v[37:38]
	v_add_f64 v[0:1], v[0:1], v[33:34]
	;; [unrolled: 1-line block ×3, first 2 shown]
	v_fma_f64 v[27:28], v[43:44], s[40:41], v[31:32]
	v_add_f64 v[27:28], v[27:28], v[25:26]
	v_mul_f64 v[25:26], v[53:54], s[40:41]
	v_fma_f64 v[29:30], v[45:46], s[42:43], v[25:26]
	v_add_f64 v[29:30], v[29:30], v[18:19]
	v_fma_f64 v[18:19], v[43:44], s[40:41], -v[31:32]
	v_add_f64 v[31:32], v[18:19], v[21:22]
	v_fma_f64 v[18:19], v[45:46], s[38:39], v[25:26]
	v_add_f64 v[33:34], v[18:19], v[23:24]
	v_mul_f64 v[18:19], v[67:68], s[50:51]
	v_fma_f64 v[21:22], v[43:44], s[52:53], v[18:19]
	v_fma_f64 v[18:19], v[43:44], s[52:53], -v[18:19]
	v_add_f64 v[25:26], v[21:22], v[16:17]
	v_mul_f64 v[16:17], v[53:54], s[52:53]
	v_add_f64 v[254:255], v[18:19], v[49:50]
	v_fma_f64 v[21:22], v[45:46], s[54:55], v[16:17]
	v_fma_f64 v[16:17], v[45:46], s[50:51], v[16:17]
	v_add_f64 v[252:253], v[21:22], v[47:48]
	v_add_f64 v[23:24], v[16:17], v[51:52]
	v_mul_f64 v[16:17], v[67:68], s[30:31]
	v_fma_f64 v[18:19], v[43:44], s[26:27], v[16:17]
	v_add_f64 v[250:251], v[18:19], v[4:5]
	v_mul_f64 v[4:5], v[53:54], s[26:27]
	v_fma_f64 v[18:19], v[45:46], s[24:25], v[4:5]
	v_fma_f64 v[4:5], v[45:46], s[30:31], v[4:5]
	v_add_f64 v[18:19], v[18:19], v[6:7]
	v_fma_f64 v[6:7], v[43:44], s[26:27], -v[16:17]
	v_add_f64 v[248:249], v[4:5], v[10:11]
	v_mul_f64 v[4:5], v[67:68], s[12:13]
	v_add_f64 v[10:11], v[212:213], v[216:217]
	v_add_f64 v[21:22], v[6:7], v[8:9]
	v_fma_f64 v[6:7], v[43:44], s[14:15], v[4:5]
	v_fma_f64 v[4:5], v[43:44], s[14:15], -v[4:5]
	v_add_f64 v[16:17], v[6:7], v[12:13]
	v_mul_f64 v[6:7], v[53:54], s[14:15]
	v_fma_f64 v[8:9], v[45:46], s[16:17], v[6:7]
	v_add_f64 v[12:13], v[8:9], v[14:15]
	v_add_f64 v[8:9], v[4:5], v[35:36]
	v_fma_f64 v[4:5], v[45:46], s[12:13], v[6:7]
	v_add_f64 v[35:36], v[214:215], -v[218:219]
	v_add_f64 v[14:15], v[214:215], v[218:219]
	v_add_f64 v[6:7], v[212:213], -v[216:217]
	v_add_f64 v[4:5], v[4:5], v[41:42]
	v_mul_f64 v[41:42], v[35:36], s[50:51]
	v_fma_f64 v[43:44], v[10:11], s[52:53], v[41:42]
	v_fma_f64 v[41:42], v[10:11], s[52:53], -v[41:42]
	v_add_f64 v[216:217], v[43:44], v[170:171]
	v_mul_f64 v[43:44], v[14:15], s[52:53]
	v_add_f64 v[212:213], v[41:42], v[65:66]
	v_fma_f64 v[41:42], v[6:7], s[50:51], v[43:44]
	v_fma_f64 v[45:46], v[6:7], s[54:55], v[43:44]
	v_add_f64 v[214:215], v[41:42], v[168:169]
	v_mul_f64 v[41:42], v[35:36], s[42:43]
	v_add_f64 v[218:219], v[45:46], v[63:64]
	v_fma_f64 v[43:44], v[10:11], s[40:41], v[41:42]
	v_fma_f64 v[41:42], v[10:11], s[40:41], -v[41:42]
	v_add_f64 v[224:225], v[43:44], v[61:62]
	v_mul_f64 v[43:44], v[14:15], s[40:41]
	v_add_f64 v[220:221], v[41:42], v[57:58]
	v_fma_f64 v[41:42], v[6:7], s[42:43], v[43:44]
	v_fma_f64 v[45:46], v[6:7], s[38:39], v[43:44]
	v_add_f64 v[222:223], v[41:42], v[59:60]
	v_mul_f64 v[41:42], v[35:36], s[44:45]
	v_add_f64 v[226:227], v[45:46], v[55:56]
	v_fma_f64 v[43:44], v[10:11], s[46:47], v[41:42]
	v_fma_f64 v[41:42], v[10:11], s[46:47], -v[41:42]
	v_add_f64 v[232:233], v[43:44], v[234:235]
	v_mul_f64 v[43:44], v[14:15], s[46:47]
	v_fma_f64 v[45:46], v[6:7], s[48:49], v[43:44]
	v_add_f64 v[234:235], v[45:46], v[228:229]
	v_add_f64 v[228:229], v[41:42], v[230:231]
	v_fma_f64 v[41:42], v[6:7], s[44:45], v[43:44]
	v_add_f64 v[230:231], v[41:42], v[236:237]
	v_mul_f64 v[41:42], v[35:36], s[30:31]
	v_fma_f64 v[43:44], v[10:11], s[26:27], v[41:42]
	v_add_f64 v[236:237], v[43:44], v[39:40]
	v_mul_f64 v[39:40], v[14:15], s[26:27]
	v_fma_f64 v[43:44], v[6:7], s[24:25], v[39:40]
	v_add_f64 v[238:239], v[43:44], v[0:1]
	v_fma_f64 v[0:1], v[10:11], s[26:27], -v[41:42]
	v_add_f64 v[0:1], v[0:1], v[2:3]
	v_fma_f64 v[2:3], v[6:7], s[30:31], v[39:40]
	v_add_f64 v[2:3], v[2:3], v[37:38]
	v_mul_f64 v[37:38], v[35:36], s[28:29]
	v_fma_f64 v[39:40], v[10:11], s[34:35], v[37:38]
	v_add_f64 v[244:245], v[39:40], v[27:28]
	v_mul_f64 v[27:28], v[14:15], s[34:35]
	v_fma_f64 v[39:40], v[6:7], s[36:37], v[27:28]
	v_fma_f64 v[27:28], v[6:7], s[28:29], v[27:28]
	v_add_f64 v[246:247], v[39:40], v[29:30]
	v_fma_f64 v[29:30], v[10:11], s[34:35], -v[37:38]
	v_add_f64 v[242:243], v[27:28], v[33:34]
	v_add_f64 v[240:241], v[29:30], v[31:32]
	v_mul_f64 v[29:30], v[35:36], s[22:23]
	v_mul_f64 v[31:32], v[14:15], s[20:21]
	v_fma_f64 v[27:28], v[10:11], s[20:21], v[29:30]
	v_fma_f64 v[29:30], v[10:11], s[20:21], -v[29:30]
	v_add_f64 v[25:26], v[27:28], v[25:26]
	v_fma_f64 v[27:28], v[6:7], s[18:19], v[31:32]
	v_fma_f64 v[31:32], v[6:7], s[22:23], v[31:32]
	v_add_f64 v[29:30], v[29:30], v[254:255]
	v_add_f64 v[27:28], v[27:28], v[252:253]
	v_add_f64 v[31:32], v[31:32], v[23:24]
	v_mul_f64 v[23:24], v[35:36], s[12:13]
	v_fma_f64 v[33:34], v[10:11], s[14:15], v[23:24]
	v_add_f64 v[37:38], v[33:34], v[250:251]
	v_mul_f64 v[33:34], v[14:15], s[14:15]
	v_mul_f64 v[14:15], v[14:15], s[2:3]
	v_fma_f64 v[39:40], v[6:7], s[16:17], v[33:34]
	v_add_f64 v[39:40], v[39:40], v[18:19]
	v_fma_f64 v[18:19], v[10:11], s[14:15], -v[23:24]
	v_add_f64 v[21:22], v[18:19], v[21:22]
	v_fma_f64 v[18:19], v[6:7], s[12:13], v[33:34]
	v_mul_f64 v[33:34], v[35:36], s[0:1]
	v_add_f64 v[23:24], v[18:19], v[248:249]
	v_fma_f64 v[18:19], v[10:11], s[2:3], v[33:34]
	v_fma_f64 v[10:11], v[10:11], s[2:3], -v[33:34]
	v_add_f64 v[16:17], v[18:19], v[16:17]
	v_fma_f64 v[18:19], v[6:7], s[6:7], v[14:15]
	v_fma_f64 v[6:7], v[6:7], s[0:1], v[14:15]
	v_add_f64 v[8:9], v[10:11], v[8:9]
	v_add_f64 v[18:19], v[18:19], v[12:13]
	;; [unrolled: 1-line block ×3, first 2 shown]
	ds_write_b128 v92, v[208:211]
	ds_write_b128 v92, v[216:219] offset:16
	ds_write_b128 v92, v[224:227] offset:32
	;; [unrolled: 1-line block ×16, first 2 shown]
	s_waitcnt lgkmcnt(0)
	s_barrier
	buffer_gl0_inv
	ds_read_b128 v[236:239], v20
	ds_read_b128 v[16:19], v20 offset:9248
	ds_read_b128 v[232:235], v20 offset:1088
	;; [unrolled: 1-line block ×15, first 2 shown]
	s_and_saveexec_b32 s0, vcc_lo
	s_cbranch_execz .LBB0_11
; %bb.10:
	ds_read_b128 v[212:215], v20 offset:8704
	ds_read_b128 v[204:207], v20 offset:17952
.LBB0_11:
	s_or_b32 exec_lo, exec_lo, s0
	s_clause 0x3
	buffer_load_dword v23, off, s[56:59], 0 offset:360
	buffer_load_dword v24, off, s[56:59], 0 offset:364
	buffer_load_dword v25, off, s[56:59], 0 offset:368
	buffer_load_dword v26, off, s[56:59], 0 offset:372
	s_waitcnt lgkmcnt(14)
	v_mul_f64 v[21:22], v[71:72], v[18:19]
	v_fma_f64 v[21:22], v[69:70], v[16:17], v[21:22]
	v_mul_f64 v[16:17], v[71:72], v[16:17]
	v_fma_f64 v[16:17], v[69:70], v[18:19], -v[16:17]
	s_waitcnt vmcnt(0) lgkmcnt(12)
	v_mul_f64 v[18:19], v[25:26], v[14:15]
	v_fma_f64 v[18:19], v[23:24], v[12:13], v[18:19]
	v_mul_f64 v[12:13], v[25:26], v[12:13]
	v_fma_f64 v[14:15], v[23:24], v[14:15], -v[12:13]
	s_waitcnt lgkmcnt(10)
	v_mul_f64 v[12:13], v[126:127], v[10:11]
	v_add_f64 v[14:15], v[234:235], -v[14:15]
	v_fma_f64 v[23:24], v[124:125], v[8:9], v[12:13]
	v_mul_f64 v[8:9], v[126:127], v[8:9]
	v_add_f64 v[12:13], v[232:233], -v[18:19]
	v_fma_f64 v[18:19], v[234:235], 2.0, -v[14:15]
	v_fma_f64 v[25:26], v[124:125], v[10:11], -v[8:9]
	s_waitcnt lgkmcnt(8)
	v_mul_f64 v[8:9], v[122:123], v[6:7]
	v_fma_f64 v[29:30], v[120:121], v[4:5], v[8:9]
	v_mul_f64 v[4:5], v[122:123], v[4:5]
	v_add_f64 v[29:30], v[224:225], -v[29:30]
	v_fma_f64 v[31:32], v[120:121], v[6:7], -v[4:5]
	s_clause 0x3
	buffer_load_dword v6, off, s[56:59], 0 offset:320
	buffer_load_dword v7, off, s[56:59], 0 offset:324
	;; [unrolled: 1-line block ×4, first 2 shown]
	s_waitcnt lgkmcnt(6)
	v_mul_f64 v[4:5], v[114:115], v[254:255]
	v_fma_f64 v[33:34], v[224:225], 2.0, -v[29:30]
	v_add_f64 v[31:32], v[226:227], -v[31:32]
	v_fma_f64 v[37:38], v[112:113], v[252:253], v[4:5]
	v_mul_f64 v[4:5], v[114:115], v[252:253]
	v_fma_f64 v[35:36], v[226:227], 2.0, -v[31:32]
	v_add_f64 v[37:38], v[220:221], -v[37:38]
	v_fma_f64 v[39:40], v[112:113], v[254:255], -v[4:5]
	s_waitcnt lgkmcnt(4)
	v_mul_f64 v[4:5], v[102:103], v[250:251]
	v_fma_f64 v[41:42], v[220:221], 2.0, -v[37:38]
	v_add_f64 v[39:40], v[222:223], -v[39:40]
	v_fma_f64 v[45:46], v[100:101], v[248:249], v[4:5]
	v_mul_f64 v[4:5], v[102:103], v[248:249]
	v_fma_f64 v[43:44], v[222:223], 2.0, -v[39:40]
	v_add_f64 v[45:46], v[216:217], -v[45:46]
	v_fma_f64 v[47:48], v[100:101], v[250:251], -v[4:5]
	;; [unrolled: 9-line block ×3, first 2 shown]
	v_fma_f64 v[57:58], v[208:209], 2.0, -v[53:54]
	v_add_f64 v[55:56], v[210:211], -v[55:56]
	v_fma_f64 v[59:60], v[210:211], 2.0, -v[55:56]
	s_waitcnt vmcnt(0) lgkmcnt(0)
	v_mul_f64 v[4:5], v[8:9], v[242:243]
	v_fma_f64 v[61:62], v[6:7], v[240:241], v[4:5]
	v_mul_f64 v[4:5], v[8:9], v[240:241]
	v_add_f64 v[61:62], v[0:1], -v[61:62]
	v_fma_f64 v[63:64], v[6:7], v[242:243], -v[4:5]
	s_clause 0x3
	buffer_load_dword v6, off, s[56:59], 0 offset:304
	buffer_load_dword v7, off, s[56:59], 0 offset:308
	;; [unrolled: 1-line block ×4, first 2 shown]
	s_waitcnt vmcnt(0)
	s_barrier
	buffer_gl0_inv
	v_fma_f64 v[0:1], v[0:1], 2.0, -v[61:62]
	v_add_f64 v[63:64], v[2:3], -v[63:64]
	v_fma_f64 v[2:3], v[2:3], 2.0, -v[63:64]
	v_mul_f64 v[4:5], v[8:9], v[206:207]
	v_fma_f64 v[65:66], v[6:7], v[204:205], v[4:5]
	v_mul_f64 v[4:5], v[8:9], v[204:205]
	v_add_f64 v[68:69], v[212:213], -v[65:66]
	v_fma_f64 v[70:71], v[6:7], v[206:207], -v[4:5]
	v_add_f64 v[4:5], v[236:237], -v[21:22]
	v_add_f64 v[6:7], v[238:239], -v[16:17]
	v_fma_f64 v[16:17], v[232:233], 2.0, -v[12:13]
	v_add_f64 v[21:22], v[228:229], -v[23:24]
	v_add_f64 v[23:24], v[230:231], -v[25:26]
	;; [unrolled: 1-line block ×3, first 2 shown]
	v_fma_f64 v[8:9], v[236:237], 2.0, -v[4:5]
	v_fma_f64 v[10:11], v[238:239], 2.0, -v[6:7]
	ds_write_b128 v95, v[8:11]
	ds_write_b128 v95, v[4:7] offset:272
	buffer_load_dword v4, off, s[56:59], 0 offset:388 ; 4-byte Folded Reload
	v_fma_f64 v[25:26], v[228:229], 2.0, -v[21:22]
	v_fma_f64 v[27:28], v[230:231], 2.0, -v[23:24]
	s_waitcnt vmcnt(0)
	ds_write_b128 v4, v[16:19]
	ds_write_b128 v4, v[12:15] offset:272
	buffer_load_dword v4, off, s[56:59], 0 offset:380 ; 4-byte Folded Reload
	s_waitcnt vmcnt(0)
	ds_write_b128 v4, v[25:28]
	ds_write_b128 v4, v[21:24] offset:272
	buffer_load_dword v4, off, s[56:59], 0 offset:392 ; 4-byte Folded Reload
	;; [unrolled: 4-line block ×6, first 2 shown]
	s_waitcnt vmcnt(0)
	ds_write_b128 v4, v[0:3]
	ds_write_b128 v4, v[61:64] offset:272
	s_and_saveexec_b32 s0, vcc_lo
	s_cbranch_execz .LBB0_13
; %bb.12:
	s_clause 0x1
	buffer_load_dword v4, off, s[56:59], 0 offset:296
	buffer_load_dword v5, off, s[56:59], 0 offset:300
	v_fma_f64 v[2:3], v[214:215], 2.0, -v[70:71]
	v_fma_f64 v[0:1], v[212:213], 2.0, -v[68:69]
	s_waitcnt vmcnt(0)
	v_mad_u16 v4, v4, 34, v5
	buffer_load_dword v5, off, s[56:59], 0 offset:4 ; 4-byte Folded Reload
	v_and_b32_e32 v4, 0xffff, v4
	s_waitcnt vmcnt(0)
	v_lshl_add_u32 v4, v4, 4, v5
	ds_write_b128 v4, v[0:3]
	ds_write_b128 v4, v[68:71] offset:272
.LBB0_13:
	s_or_b32 exec_lo, exec_lo, s0
	s_waitcnt lgkmcnt(0)
	s_barrier
	buffer_gl0_inv
	ds_read_b128 v[80:83], v20
	ds_read_b128 v[0:3], v20 offset:1088
	ds_read_b128 v[4:7], v20 offset:2176
	;; [unrolled: 1-line block ×16, first 2 shown]
	s_mov_b32 s40, 0x6ed5f1bb
	s_mov_b32 s41, 0xbfe348c8
	;; [unrolled: 1-line block ×4, first 2 shown]
	s_waitcnt lgkmcnt(15)
	v_mul_f64 v[21:22], v[134:135], v[2:3]
	s_mov_b32 s43, 0x3fe9895b
	s_mov_b32 s42, s38
	;; [unrolled: 1-line block ×21, first 2 shown]
	v_fma_f64 v[74:75], v[132:133], v[0:1], v[21:22]
	v_mul_f64 v[0:1], v[134:135], v[0:1]
	s_mov_b32 s36, s28
	s_mov_b32 s23, 0x3fe58eea
	;; [unrolled: 1-line block ×8, first 2 shown]
	v_add_nc_u32_e32 v168, 0x1980, v20
	v_add_nc_u32_e32 v67, 0x1dc0, v20
	v_fma_f64 v[120:121], v[132:133], v[2:3], -v[0:1]
	s_waitcnt lgkmcnt(14)
	v_mul_f64 v[0:1], v[98:99], v[6:7]
	v_fma_f64 v[114:115], v[96:97], v[4:5], v[0:1]
	v_mul_f64 v[0:1], v[98:99], v[4:5]
	s_clause 0x3
	buffer_load_dword v2, off, s[56:59], 0 offset:340
	buffer_load_dword v3, off, s[56:59], 0 offset:344
	;; [unrolled: 1-line block ×4, first 2 shown]
	s_waitcnt vmcnt(0) lgkmcnt(0)
	s_barrier
	buffer_gl0_inv
	v_fma_f64 v[112:113], v[96:97], v[6:7], -v[0:1]
	v_mul_f64 v[0:1], v[86:87], v[10:11]
	v_fma_f64 v[98:99], v[84:85], v[8:9], v[0:1]
	v_mul_f64 v[0:1], v[86:87], v[8:9]
	v_fma_f64 v[100:101], v[84:85], v[10:11], -v[0:1]
	v_mul_f64 v[10:11], v[146:147], v[41:42]
	v_mul_f64 v[0:1], v[4:5], v[14:15]
	v_fma_f64 v[94:95], v[2:3], v[12:13], v[0:1]
	v_mul_f64 v[0:1], v[4:5], v[12:13]
	v_fma_f64 v[90:91], v[2:3], v[14:15], -v[0:1]
	v_mul_f64 v[0:1], v[150:151], v[18:19]
	v_mul_f64 v[2:3], v[162:163], v[37:38]
	v_fma_f64 v[14:15], v[144:145], v[39:40], v[10:11]
	v_mul_f64 v[10:11], v[146:147], v[39:40]
	v_fma_f64 v[84:85], v[148:149], v[16:17], v[0:1]
	v_mul_f64 v[0:1], v[150:151], v[16:17]
	v_fma_f64 v[6:7], v[160:161], v[35:36], v[2:3]
	v_mul_f64 v[2:3], v[162:163], v[35:36]
	v_fma_f64 v[10:11], v[144:145], v[41:42], -v[10:11]
	v_fma_f64 v[78:79], v[148:149], v[18:19], -v[0:1]
	v_mul_f64 v[0:1], v[118:119], v[25:26]
	v_mul_f64 v[18:19], v[142:143], v[45:46]
	v_fma_f64 v[2:3], v[160:161], v[37:38], -v[2:3]
	v_fma_f64 v[21:22], v[116:117], v[23:24], v[0:1]
	v_mul_f64 v[0:1], v[118:119], v[23:24]
	v_mul_f64 v[23:24], v[138:139], v[49:50]
	v_fma_f64 v[76:77], v[140:141], v[43:44], v[18:19]
	v_mul_f64 v[18:19], v[142:143], v[43:44]
	v_fma_f64 v[16:17], v[116:117], v[25:26], -v[0:1]
	v_mul_f64 v[0:1], v[110:111], v[29:30]
	v_fma_f64 v[88:89], v[136:137], v[47:48], v[23:24]
	v_mul_f64 v[23:24], v[138:139], v[47:48]
	v_mul_f64 v[25:26], v[130:131], v[63:64]
	v_fma_f64 v[18:19], v[140:141], v[45:46], -v[18:19]
	v_fma_f64 v[12:13], v[108:109], v[27:28], v[0:1]
	v_mul_f64 v[0:1], v[110:111], v[27:28]
	v_add_f64 v[27:28], v[80:81], v[74:75]
	v_fma_f64 v[86:87], v[136:137], v[49:50], -v[23:24]
	v_mul_f64 v[23:24], v[166:167], v[53:54]
	v_fma_f64 v[25:26], v[128:129], v[65:66], -v[25:26]
	v_fma_f64 v[8:9], v[108:109], v[29:30], -v[0:1]
	v_add_f64 v[27:28], v[27:28], v[114:115]
	v_mul_f64 v[0:1], v[106:107], v[33:34]
	v_add_f64 v[29:30], v[82:83], v[120:121]
	v_fma_f64 v[96:97], v[164:165], v[51:52], v[23:24]
	v_mul_f64 v[23:24], v[166:167], v[51:52]
	v_add_f64 v[35:36], v[120:121], v[25:26]
	v_add_f64 v[27:28], v[27:28], v[98:99]
	v_fma_f64 v[4:5], v[104:105], v[31:32], v[0:1]
	v_add_f64 v[29:30], v[29:30], v[112:113]
	v_mul_f64 v[0:1], v[106:107], v[31:32]
	v_fma_f64 v[92:93], v[164:165], v[53:54], -v[23:24]
	v_mul_f64 v[23:24], v[158:159], v[57:58]
	v_mul_f64 v[116:117], v[35:36], s[26:27]
	;; [unrolled: 1-line block ×4, first 2 shown]
	v_add_f64 v[27:28], v[27:28], v[94:95]
	v_add_f64 v[29:30], v[29:30], v[100:101]
	v_fma_f64 v[0:1], v[104:105], v[33:34], -v[0:1]
	v_mul_f64 v[33:34], v[35:36], s[34:35]
	v_fma_f64 v[104:105], v[156:157], v[55:56], v[23:24]
	v_mul_f64 v[23:24], v[158:159], v[55:56]
	v_add_f64 v[27:28], v[27:28], v[84:85]
	v_add_f64 v[29:30], v[29:30], v[90:91]
	v_fma_f64 v[102:103], v[156:157], v[57:58], -v[23:24]
	v_mul_f64 v[23:24], v[154:155], v[61:62]
	v_add_f64 v[27:28], v[27:28], v[21:22]
	v_add_f64 v[29:30], v[29:30], v[78:79]
	v_fma_f64 v[108:109], v[152:153], v[59:60], v[23:24]
	v_mul_f64 v[23:24], v[154:155], v[59:60]
	v_mul_f64 v[59:60], v[35:36], s[2:3]
	v_add_f64 v[27:28], v[27:28], v[12:13]
	v_add_f64 v[29:30], v[29:30], v[16:17]
	v_fma_f64 v[106:107], v[152:153], v[61:62], -v[23:24]
	v_mul_f64 v[23:24], v[130:131], v[65:66]
	v_add_f64 v[61:62], v[120:121], -v[25:26]
	v_mul_f64 v[120:121], v[35:36], s[40:41]
	v_add_f64 v[27:28], v[27:28], v[4:5]
	v_add_f64 v[29:30], v[29:30], v[8:9]
	;; [unrolled: 1-line block ×3, first 2 shown]
	v_fma_f64 v[23:24], v[128:129], v[63:64], v[23:24]
	v_mul_f64 v[31:32], v[61:62], s[28:29]
	v_mul_f64 v[41:42], v[61:62], s[18:19]
	;; [unrolled: 1-line block ×4, first 2 shown]
	v_add_f64 v[27:28], v[27:28], v[6:7]
	v_add_f64 v[29:30], v[29:30], v[0:1]
	v_add_f64 v[27:28], v[27:28], v[14:15]
	v_add_f64 v[29:30], v[29:30], v[2:3]
	v_add_f64 v[27:28], v[27:28], v[76:77]
	v_add_f64 v[29:30], v[29:30], v[10:11]
	v_add_f64 v[27:28], v[27:28], v[88:89]
	v_add_f64 v[29:30], v[29:30], v[18:19]
	v_add_f64 v[27:28], v[27:28], v[96:97]
	v_add_f64 v[29:30], v[29:30], v[86:87]
	v_add_f64 v[27:28], v[27:28], v[104:105]
	v_add_f64 v[29:30], v[29:30], v[92:93]
	v_add_f64 v[27:28], v[27:28], v[108:109]
	v_add_f64 v[29:30], v[29:30], v[102:103]
	v_add_f64 v[126:127], v[27:28], v[23:24]
	v_add_f64 v[27:28], v[74:75], v[23:24]
	v_add_f64 v[23:24], v[74:75], -v[23:24]
	v_mul_f64 v[74:75], v[61:62], s[24:25]
	v_add_f64 v[29:30], v[29:30], v[106:107]
	v_add_f64 v[106:107], v[112:113], -v[106:107]
	v_fma_f64 v[37:38], v[27:28], s[20:21], v[41:42]
	v_fma_f64 v[122:123], v[23:24], s[42:43], v[120:121]
	;; [unrolled: 1-line block ×4, first 2 shown]
	v_fma_f64 v[74:75], v[27:28], s[26:27], -v[74:75]
	v_fma_f64 v[65:66], v[23:24], s[30:31], v[116:117]
	v_add_f64 v[128:129], v[29:30], v[25:26]
	v_fma_f64 v[29:30], v[23:24], s[36:37], v[33:34]
	v_fma_f64 v[33:34], v[23:24], s[28:29], v[33:34]
	;; [unrolled: 1-line block ×9, first 2 shown]
	v_fma_f64 v[31:32], v[27:28], s[34:35], -v[31:32]
	v_fma_f64 v[41:42], v[27:28], s[20:21], -v[41:42]
	v_fma_f64 v[45:46], v[27:28], s[14:15], v[49:50]
	v_fma_f64 v[49:50], v[27:28], s[14:15], -v[49:50]
	v_fma_f64 v[53:54], v[27:28], s[2:3], v[57:58]
	v_fma_f64 v[57:58], v[27:28], s[2:3], -v[57:58]
	v_add_f64 v[37:38], v[80:81], v[37:38]
	v_add_f64 v[124:125], v[82:83], v[122:123]
	;; [unrolled: 1-line block ×3, first 2 shown]
	v_mul_f64 v[120:121], v[61:62], s[44:45]
	v_add_f64 v[110:111], v[80:81], v[74:75]
	v_fma_f64 v[74:75], v[23:24], s[24:25], v[116:117]
	v_add_f64 v[65:66], v[82:83], v[65:66]
	v_add_f64 v[29:30], v[82:83], v[29:30]
	;; [unrolled: 1-line block ×17, first 2 shown]
	v_fma_f64 v[122:123], v[27:28], s[46:47], v[120:121]
	v_fma_f64 v[120:121], v[27:28], s[46:47], -v[120:121]
	v_add_f64 v[116:117], v[82:83], v[74:75]
	v_mul_f64 v[74:75], v[61:62], s[38:39]
	v_mul_f64 v[61:62], v[61:62], s[50:51]
	v_add_f64 v[132:133], v[80:81], v[122:123]
	v_mul_f64 v[122:123], v[35:36], s[46:47]
	v_add_f64 v[136:137], v[80:81], v[120:121]
	v_mul_f64 v[35:36], v[35:36], s[52:53]
	v_fma_f64 v[118:119], v[27:28], s[40:41], v[74:75]
	v_fma_f64 v[74:75], v[27:28], s[40:41], -v[74:75]
	v_fma_f64 v[120:121], v[23:24], s[44:45], v[122:123]
	v_fma_f64 v[134:135], v[23:24], s[48:49], v[122:123]
	v_add_f64 v[118:119], v[80:81], v[118:119]
	v_add_f64 v[74:75], v[80:81], v[74:75]
	;; [unrolled: 1-line block ×3, first 2 shown]
	v_fma_f64 v[120:121], v[27:28], s[52:53], v[61:62]
	v_fma_f64 v[27:28], v[27:28], s[52:53], -v[61:62]
	v_add_f64 v[134:135], v[82:83], v[134:135]
	v_add_f64 v[140:141], v[80:81], v[120:121]
	v_fma_f64 v[120:121], v[23:24], s[54:55], v[35:36]
	v_fma_f64 v[23:24], v[23:24], s[50:51], v[35:36]
	v_add_f64 v[35:36], v[114:115], v[108:109]
	v_add_f64 v[144:145], v[80:81], v[27:28]
	v_add_f64 v[108:109], v[114:115], -v[108:109]
	v_add_f64 v[142:143], v[82:83], v[120:121]
	v_add_f64 v[146:147], v[82:83], v[23:24]
	v_mul_f64 v[23:24], v[106:107], s[18:19]
	v_fma_f64 v[27:28], v[35:36], s[20:21], v[23:24]
	v_fma_f64 v[23:24], v[35:36], s[20:21], -v[23:24]
	v_add_f64 v[112:113], v[27:28], v[25:26]
	v_mul_f64 v[25:26], v[148:149], s[20:21]
	v_add_f64 v[152:153], v[23:24], v[31:32]
	v_fma_f64 v[23:24], v[108:109], s[18:19], v[25:26]
	v_fma_f64 v[27:28], v[108:109], s[22:23], v[25:26]
	v_add_f64 v[154:155], v[23:24], v[33:34]
	v_mul_f64 v[23:24], v[106:107], s[6:7]
	v_add_f64 v[150:151], v[27:28], v[29:30]
	v_mul_f64 v[29:30], v[148:149], s[14:15]
	v_fma_f64 v[25:26], v[35:36], s[2:3], v[23:24]
	v_fma_f64 v[23:24], v[35:36], s[2:3], -v[23:24]
	v_add_f64 v[156:157], v[25:26], v[37:38]
	v_mul_f64 v[25:26], v[148:149], s[2:3]
	v_add_f64 v[160:161], v[23:24], v[41:42]
	v_mul_f64 v[37:38], v[106:107], s[36:37]
	v_fma_f64 v[23:24], v[108:109], s[6:7], v[25:26]
	v_fma_f64 v[27:28], v[108:109], s[0:1], v[25:26]
	;; [unrolled: 1-line block ×3, first 2 shown]
	v_add_f64 v[162:163], v[23:24], v[43:44]
	v_mul_f64 v[23:24], v[106:107], s[38:39]
	v_add_f64 v[158:159], v[27:28], v[39:40]
	v_add_f64 v[31:32], v[31:32], v[140:141]
	v_fma_f64 v[25:26], v[35:36], s[40:41], v[23:24]
	v_fma_f64 v[23:24], v[35:36], s[40:41], -v[23:24]
	v_add_f64 v[122:123], v[25:26], v[45:46]
	v_mul_f64 v[25:26], v[148:149], s[40:41]
	v_add_f64 v[82:83], v[23:24], v[49:50]
	v_fma_f64 v[23:24], v[108:109], s[38:39], v[25:26]
	v_fma_f64 v[27:28], v[108:109], s[42:43], v[25:26]
	v_add_f64 v[114:115], v[23:24], v[51:52]
	v_mul_f64 v[23:24], v[106:107], s[50:51]
	v_add_f64 v[120:121], v[27:28], v[47:48]
	v_fma_f64 v[25:26], v[35:36], s[52:53], v[23:24]
	v_fma_f64 v[23:24], v[35:36], s[52:53], -v[23:24]
	v_add_f64 v[80:81], v[25:26], v[53:54]
	v_mul_f64 v[25:26], v[148:149], s[52:53]
	v_fma_f64 v[27:28], v[108:109], s[54:55], v[25:26]
	v_add_f64 v[61:62], v[27:28], v[55:56]
	v_add_f64 v[55:56], v[23:24], v[57:58]
	v_fma_f64 v[23:24], v[108:109], s[50:51], v[25:26]
	v_add_f64 v[57:58], v[23:24], v[59:60]
	v_mul_f64 v[23:24], v[106:107], s[48:49]
	v_mul_f64 v[59:60], v[148:149], s[34:35]
	v_fma_f64 v[25:26], v[35:36], s[46:47], v[23:24]
	v_fma_f64 v[23:24], v[35:36], s[46:47], -v[23:24]
	v_fma_f64 v[33:34], v[108:109], s[28:29], v[59:60]
	v_add_f64 v[51:52], v[25:26], v[63:64]
	v_mul_f64 v[25:26], v[148:149], s[46:47]
	v_add_f64 v[47:48], v[23:24], v[110:111]
	v_add_f64 v[33:34], v[33:34], v[142:143]
	v_fma_f64 v[23:24], v[108:109], s[48:49], v[25:26]
	v_fma_f64 v[27:28], v[108:109], s[44:45], v[25:26]
	v_add_f64 v[53:54], v[23:24], v[116:117]
	v_mul_f64 v[23:24], v[106:107], s[30:31]
	v_add_f64 v[49:50], v[27:28], v[65:66]
	v_fma_f64 v[25:26], v[35:36], s[26:27], v[23:24]
	v_fma_f64 v[23:24], v[35:36], s[26:27], -v[23:24]
	v_add_f64 v[45:46], v[25:26], v[118:119]
	v_mul_f64 v[25:26], v[148:149], s[26:27]
	v_add_f64 v[41:42], v[23:24], v[74:75]
	v_add_f64 v[74:75], v[98:99], v[104:105]
	v_fma_f64 v[27:28], v[108:109], s[24:25], v[25:26]
	v_fma_f64 v[23:24], v[108:109], s[30:31], v[25:26]
	;; [unrolled: 1-line block ×4, first 2 shown]
	v_add_f64 v[39:40], v[27:28], v[124:125]
	v_mul_f64 v[27:28], v[106:107], s[16:17]
	v_add_f64 v[25:26], v[25:26], v[134:135]
	v_add_f64 v[134:135], v[100:101], -v[102:103]
	v_add_f64 v[43:44], v[23:24], v[130:131]
	v_add_f64 v[130:131], v[100:101], v[102:103]
	;; [unrolled: 1-line block ×3, first 2 shown]
	v_fma_f64 v[23:24], v[35:36], s[14:15], v[27:28]
	v_fma_f64 v[27:28], v[35:36], s[14:15], -v[27:28]
	v_fma_f64 v[35:36], v[35:36], s[34:35], -v[37:38]
	v_fma_f64 v[37:38], v[108:109], s[36:37], v[59:60]
	v_mul_f64 v[59:60], v[134:135], s[12:13]
	v_add_f64 v[23:24], v[23:24], v[132:133]
	v_add_f64 v[132:133], v[98:99], -v[104:105]
	v_add_f64 v[27:28], v[27:28], v[136:137]
	v_add_f64 v[35:36], v[35:36], v[144:145]
	v_fma_f64 v[63:64], v[74:75], s[14:15], v[59:60]
	v_fma_f64 v[59:60], v[74:75], s[14:15], -v[59:60]
	v_add_f64 v[37:38], v[37:38], v[146:147]
	v_add_f64 v[124:125], v[63:64], v[112:113]
	v_mul_f64 v[63:64], v[130:131], s[14:15]
	v_add_f64 v[116:117], v[59:60], v[152:153]
	v_fma_f64 v[59:60], v[132:133], s[12:13], v[63:64]
	v_fma_f64 v[65:66], v[132:133], s[16:17], v[63:64]
	v_add_f64 v[118:119], v[59:60], v[154:155]
	v_mul_f64 v[59:60], v[134:135], s[38:39]
	v_add_f64 v[112:113], v[65:66], v[150:151]
	v_fma_f64 v[63:64], v[74:75], s[40:41], v[59:60]
	v_fma_f64 v[59:60], v[74:75], s[40:41], -v[59:60]
	v_add_f64 v[110:111], v[63:64], v[156:157]
	v_mul_f64 v[63:64], v[130:131], s[40:41]
	v_add_f64 v[106:107], v[59:60], v[160:161]
	v_fma_f64 v[59:60], v[132:133], s[38:39], v[63:64]
	v_fma_f64 v[65:66], v[132:133], s[42:43], v[63:64]
	v_add_f64 v[108:109], v[59:60], v[162:163]
	v_mul_f64 v[59:60], v[134:135], s[54:55]
	v_add_f64 v[104:105], v[65:66], v[158:159]
	v_fma_f64 v[63:64], v[74:75], s[52:53], v[59:60]
	v_fma_f64 v[59:60], v[74:75], s[52:53], -v[59:60]
	v_add_f64 v[102:103], v[63:64], v[122:123]
	v_mul_f64 v[63:64], v[130:131], s[52:53]
	v_add_f64 v[82:83], v[59:60], v[82:83]
	v_fma_f64 v[59:60], v[132:133], s[54:55], v[63:64]
	v_fma_f64 v[65:66], v[132:133], s[50:51], v[63:64]
	v_add_f64 v[98:99], v[59:60], v[114:115]
	v_mul_f64 v[59:60], v[134:135], s[30:31]
	v_add_f64 v[100:101], v[65:66], v[120:121]
	v_mul_f64 v[65:66], v[130:131], s[26:27]
	v_fma_f64 v[63:64], v[74:75], s[26:27], v[59:60]
	v_fma_f64 v[59:60], v[74:75], s[26:27], -v[59:60]
	v_add_f64 v[80:81], v[63:64], v[80:81]
	v_fma_f64 v[63:64], v[132:133], s[24:25], v[65:66]
	v_add_f64 v[61:62], v[63:64], v[61:62]
	v_add_f64 v[63:64], v[59:60], v[55:56]
	v_fma_f64 v[55:56], v[132:133], s[30:31], v[65:66]
	v_add_f64 v[65:66], v[55:56], v[57:58]
	v_mul_f64 v[55:56], v[134:135], s[22:23]
	v_fma_f64 v[57:58], v[74:75], s[20:21], v[55:56]
	v_add_f64 v[59:60], v[57:58], v[51:52]
	v_mul_f64 v[57:58], v[130:131], s[20:21]
	v_fma_f64 v[51:52], v[132:133], s[18:19], v[57:58]
	v_add_f64 v[49:50], v[51:52], v[49:50]
	v_fma_f64 v[51:52], v[74:75], s[20:21], -v[55:56]
	v_mul_f64 v[55:56], v[134:135], s[28:29]
	v_add_f64 v[51:52], v[51:52], v[47:48]
	v_fma_f64 v[47:48], v[132:133], s[22:23], v[57:58]
	v_add_f64 v[53:54], v[47:48], v[53:54]
	v_fma_f64 v[47:48], v[74:75], s[34:35], v[55:56]
	v_fma_f64 v[55:56], v[74:75], s[34:35], -v[55:56]
	v_add_f64 v[47:48], v[47:48], v[45:46]
	v_mul_f64 v[45:46], v[130:131], s[34:35]
	v_add_f64 v[41:42], v[55:56], v[41:42]
	v_fma_f64 v[57:58], v[132:133], s[36:37], v[45:46]
	v_fma_f64 v[45:46], v[132:133], s[28:29], v[45:46]
	v_add_f64 v[39:40], v[57:58], v[39:40]
	v_add_f64 v[43:44], v[45:46], v[43:44]
	v_mul_f64 v[45:46], v[134:135], s[6:7]
	v_fma_f64 v[55:56], v[74:75], s[2:3], v[45:46]
	v_fma_f64 v[45:46], v[74:75], s[2:3], -v[45:46]
	v_add_f64 v[23:24], v[55:56], v[23:24]
	v_mul_f64 v[55:56], v[130:131], s[2:3]
	v_add_f64 v[27:28], v[45:46], v[27:28]
	v_fma_f64 v[45:46], v[132:133], s[6:7], v[55:56]
	v_fma_f64 v[57:58], v[132:133], s[0:1], v[55:56]
	v_add_f64 v[29:30], v[45:46], v[29:30]
	v_mul_f64 v[45:46], v[134:135], s[44:45]
	v_add_f64 v[25:26], v[57:58], v[25:26]
	v_fma_f64 v[55:56], v[74:75], s[46:47], v[45:46]
	v_fma_f64 v[45:46], v[74:75], s[46:47], -v[45:46]
	v_add_f64 v[31:32], v[55:56], v[31:32]
	v_mul_f64 v[55:56], v[130:131], s[46:47]
	v_add_f64 v[35:36], v[45:46], v[35:36]
	v_fma_f64 v[57:58], v[132:133], s[48:49], v[55:56]
	v_fma_f64 v[45:46], v[132:133], s[44:45], v[55:56]
	v_add_f64 v[55:56], v[94:95], -v[96:97]
	v_add_f64 v[33:34], v[57:58], v[33:34]
	v_add_f64 v[57:58], v[90:91], v[92:93]
	;; [unrolled: 1-line block ×4, first 2 shown]
	v_add_f64 v[90:91], v[90:91], -v[92:93]
	v_mul_f64 v[94:95], v[57:58], s[2:3]
	v_mul_f64 v[74:75], v[90:91], s[6:7]
	v_fma_f64 v[96:97], v[55:56], s[0:1], v[94:95]
	v_fma_f64 v[94:95], v[55:56], s[6:7], v[94:95]
	;; [unrolled: 1-line block ×3, first 2 shown]
	v_fma_f64 v[74:75], v[45:46], s[2:3], -v[74:75]
	v_add_f64 v[96:97], v[96:97], v[112:113]
	v_mul_f64 v[112:113], v[90:91], s[50:51]
	v_add_f64 v[94:95], v[94:95], v[118:119]
	v_add_f64 v[92:93], v[92:93], v[124:125]
	;; [unrolled: 1-line block ×3, first 2 shown]
	v_fma_f64 v[114:115], v[45:46], s[52:53], v[112:113]
	v_fma_f64 v[112:113], v[45:46], s[52:53], -v[112:113]
	v_add_f64 v[110:111], v[114:115], v[110:111]
	v_mul_f64 v[114:115], v[57:58], s[52:53]
	v_add_f64 v[106:107], v[112:113], v[106:107]
	v_fma_f64 v[112:113], v[55:56], s[50:51], v[114:115]
	v_fma_f64 v[116:117], v[55:56], s[54:55], v[114:115]
	v_add_f64 v[108:109], v[112:113], v[108:109]
	v_mul_f64 v[112:113], v[90:91], s[30:31]
	v_add_f64 v[104:105], v[116:117], v[104:105]
	v_fma_f64 v[114:115], v[45:46], s[26:27], v[112:113]
	v_fma_f64 v[112:113], v[45:46], s[26:27], -v[112:113]
	v_add_f64 v[102:103], v[114:115], v[102:103]
	v_mul_f64 v[114:115], v[57:58], s[26:27]
	v_add_f64 v[82:83], v[112:113], v[82:83]
	v_fma_f64 v[112:113], v[55:56], s[30:31], v[114:115]
	v_fma_f64 v[116:117], v[55:56], s[24:25], v[114:115]
	v_add_f64 v[98:99], v[112:113], v[98:99]
	v_mul_f64 v[112:113], v[90:91], s[36:37]
	v_add_f64 v[100:101], v[116:117], v[100:101]
	;; [unrolled: 10-line block ×4, first 2 shown]
	v_fma_f64 v[114:115], v[45:46], s[46:47], v[112:113]
	v_fma_f64 v[112:113], v[45:46], s[46:47], -v[112:113]
	v_add_f64 v[47:48], v[114:115], v[47:48]
	v_mul_f64 v[114:115], v[57:58], s[46:47]
	v_add_f64 v[41:42], v[112:113], v[41:42]
	v_fma_f64 v[112:113], v[55:56], s[44:45], v[114:115]
	v_fma_f64 v[116:117], v[55:56], s[48:49], v[114:115]
	v_add_f64 v[43:44], v[112:113], v[43:44]
	v_mul_f64 v[112:113], v[90:91], s[42:43]
	v_mul_f64 v[90:91], v[90:91], s[22:23]
	v_add_f64 v[39:40], v[116:117], v[39:40]
	v_fma_f64 v[114:115], v[45:46], s[40:41], v[112:113]
	v_fma_f64 v[112:113], v[45:46], s[40:41], -v[112:113]
	v_add_f64 v[23:24], v[114:115], v[23:24]
	v_mul_f64 v[114:115], v[57:58], s[40:41]
	v_add_f64 v[27:28], v[112:113], v[27:28]
	v_mul_f64 v[57:58], v[57:58], s[20:21]
	v_fma_f64 v[112:113], v[55:56], s[42:43], v[114:115]
	v_fma_f64 v[116:117], v[55:56], s[38:39], v[114:115]
	v_add_f64 v[29:30], v[112:113], v[29:30]
	v_fma_f64 v[112:113], v[45:46], s[20:21], v[90:91]
	v_fma_f64 v[45:46], v[45:46], s[20:21], -v[90:91]
	v_add_f64 v[25:26], v[116:117], v[25:26]
	v_add_f64 v[31:32], v[112:113], v[31:32]
	v_fma_f64 v[112:113], v[55:56], s[18:19], v[57:58]
	v_add_f64 v[35:36], v[45:46], v[35:36]
	v_fma_f64 v[45:46], v[55:56], s[22:23], v[57:58]
	v_add_f64 v[55:56], v[78:79], v[86:87]
	v_add_f64 v[78:79], v[78:79], -v[86:87]
	v_add_f64 v[57:58], v[84:85], -v[88:89]
	v_add_f64 v[33:34], v[112:113], v[33:34]
	v_add_f64 v[37:38], v[45:46], v[37:38]
	;; [unrolled: 1-line block ×3, first 2 shown]
	v_mul_f64 v[84:85], v[78:79], s[24:25]
	v_mul_f64 v[88:89], v[55:56], s[26:27]
	v_fma_f64 v[86:87], v[45:46], s[26:27], v[84:85]
	v_fma_f64 v[84:85], v[45:46], s[26:27], -v[84:85]
	v_fma_f64 v[90:91], v[57:58], s[30:31], v[88:89]
	v_add_f64 v[86:87], v[86:87], v[92:93]
	v_add_f64 v[74:75], v[84:85], v[74:75]
	v_fma_f64 v[84:85], v[57:58], s[24:25], v[88:89]
	v_add_f64 v[90:91], v[90:91], v[96:97]
	v_mul_f64 v[88:89], v[78:79], s[48:49]
	v_add_f64 v[84:85], v[84:85], v[94:95]
	v_mul_f64 v[94:95], v[55:56], s[46:47]
	v_fma_f64 v[92:93], v[45:46], s[46:47], v[88:89]
	v_fma_f64 v[88:89], v[45:46], s[46:47], -v[88:89]
	v_fma_f64 v[96:97], v[57:58], s[44:45], v[94:95]
	v_fma_f64 v[94:95], v[57:58], s[48:49], v[94:95]
	v_add_f64 v[88:89], v[88:89], v[106:107]
	v_add_f64 v[92:93], v[92:93], v[110:111]
	;; [unrolled: 1-line block ×3, first 2 shown]
	v_mul_f64 v[104:105], v[78:79], s[22:23]
	v_add_f64 v[94:95], v[94:95], v[108:109]
	v_fma_f64 v[106:107], v[45:46], s[20:21], v[104:105]
	v_fma_f64 v[104:105], v[45:46], s[20:21], -v[104:105]
	v_add_f64 v[102:103], v[106:107], v[102:103]
	v_mul_f64 v[106:107], v[55:56], s[20:21]
	v_add_f64 v[82:83], v[104:105], v[82:83]
	v_fma_f64 v[104:105], v[57:58], s[22:23], v[106:107]
	v_fma_f64 v[108:109], v[57:58], s[18:19], v[106:107]
	v_add_f64 v[98:99], v[104:105], v[98:99]
	v_mul_f64 v[104:105], v[78:79], s[12:13]
	v_add_f64 v[100:101], v[108:109], v[100:101]
	v_fma_f64 v[106:107], v[45:46], s[14:15], v[104:105]
	v_fma_f64 v[104:105], v[45:46], s[14:15], -v[104:105]
	v_add_f64 v[80:81], v[106:107], v[80:81]
	v_mul_f64 v[106:107], v[55:56], s[14:15]
	v_add_f64 v[63:64], v[104:105], v[63:64]
	v_fma_f64 v[104:105], v[57:58], s[12:13], v[106:107]
	v_fma_f64 v[108:109], v[57:58], s[16:17], v[106:107]
	v_add_f64 v[65:66], v[104:105], v[65:66]
	;; [unrolled: 10-line block ×5, first 2 shown]
	v_mul_f64 v[29:30], v[78:79], s[38:39]
	v_add_f64 v[25:26], v[108:109], v[25:26]
	v_fma_f64 v[53:54], v[45:46], s[40:41], v[29:30]
	v_fma_f64 v[29:30], v[45:46], s[40:41], -v[29:30]
	v_add_f64 v[78:79], v[53:54], v[31:32]
	v_mul_f64 v[31:32], v[55:56], s[40:41]
	v_add_f64 v[45:46], v[29:30], v[35:36]
	v_add_f64 v[35:36], v[16:17], v[18:19]
	v_fma_f64 v[53:54], v[57:58], s[42:43], v[31:32]
	v_fma_f64 v[29:30], v[57:58], s[38:39], v[31:32]
	v_add_f64 v[108:109], v[53:54], v[33:34]
	v_add_f64 v[33:34], v[16:17], -v[18:19]
	v_add_f64 v[57:58], v[29:30], v[37:38]
	v_add_f64 v[37:38], v[21:22], v[76:77]
	v_add_f64 v[21:22], v[21:22], -v[76:77]
	v_mul_f64 v[16:17], v[33:34], s[38:39]
	v_fma_f64 v[18:19], v[37:38], s[40:41], v[16:17]
	v_fma_f64 v[16:17], v[37:38], s[40:41], -v[16:17]
	v_add_f64 v[76:77], v[18:19], v[86:87]
	v_mul_f64 v[18:19], v[35:36], s[40:41]
	v_add_f64 v[74:75], v[16:17], v[74:75]
	v_fma_f64 v[16:17], v[21:22], s[38:39], v[18:19]
	v_fma_f64 v[29:30], v[21:22], s[42:43], v[18:19]
	v_add_f64 v[84:85], v[16:17], v[84:85]
	v_mul_f64 v[16:17], v[33:34], s[30:31]
	v_add_f64 v[86:87], v[29:30], v[90:91]
	v_fma_f64 v[18:19], v[37:38], s[26:27], v[16:17]
	v_fma_f64 v[16:17], v[37:38], s[26:27], -v[16:17]
	v_add_f64 v[90:91], v[18:19], v[92:93]
	v_mul_f64 v[18:19], v[35:36], s[26:27]
	v_add_f64 v[88:89], v[16:17], v[88:89]
	v_fma_f64 v[16:17], v[21:22], s[30:31], v[18:19]
	v_fma_f64 v[29:30], v[21:22], s[24:25], v[18:19]
	v_add_f64 v[94:95], v[16:17], v[94:95]
	v_mul_f64 v[16:17], v[33:34], s[28:29]
	v_add_f64 v[92:93], v[29:30], v[96:97]
	;; [unrolled: 10-line block ×4, first 2 shown]
	v_fma_f64 v[18:19], v[37:38], s[2:3], v[16:17]
	v_fma_f64 v[16:17], v[37:38], s[2:3], -v[16:17]
	v_add_f64 v[59:60], v[18:19], v[59:60]
	v_mul_f64 v[18:19], v[35:36], s[2:3]
	v_add_f64 v[53:54], v[16:17], v[51:52]
	v_add_f64 v[51:52], v[8:9], v[10:11]
	v_add_f64 v[8:9], v[8:9], -v[10:11]
	v_fma_f64 v[16:17], v[21:22], s[0:1], v[18:19]
	v_fma_f64 v[29:30], v[21:22], s[6:7], v[18:19]
	v_mul_f64 v[10:11], v[8:9], s[44:45]
	v_add_f64 v[55:56], v[16:17], v[104:105]
	v_mul_f64 v[16:17], v[33:34], s[18:19]
	v_add_f64 v[49:50], v[29:30], v[49:50]
	v_fma_f64 v[18:19], v[37:38], s[20:21], v[16:17]
	v_fma_f64 v[16:17], v[37:38], s[20:21], -v[16:17]
	v_add_f64 v[102:103], v[18:19], v[47:48]
	v_mul_f64 v[18:19], v[35:36], s[20:21]
	v_add_f64 v[110:111], v[16:17], v[41:42]
	v_add_f64 v[47:48], v[12:13], v[14:15]
	v_add_f64 v[12:13], v[12:13], -v[14:15]
	v_fma_f64 v[29:30], v[21:22], s[22:23], v[18:19]
	v_fma_f64 v[16:17], v[21:22], s[18:19], v[18:19]
	;; [unrolled: 1-line block ×3, first 2 shown]
	v_fma_f64 v[10:11], v[47:48], s[46:47], -v[10:11]
	v_add_f64 v[104:105], v[29:30], v[39:40]
	v_mul_f64 v[29:30], v[33:34], s[50:51]
	v_add_f64 v[112:113], v[16:17], v[43:44]
	v_add_f64 v[76:77], v[14:15], v[76:77]
	v_mul_f64 v[14:15], v[51:52], s[46:47]
	v_add_f64 v[74:75], v[10:11], v[74:75]
	v_fma_f64 v[16:17], v[37:38], s[52:53], v[29:30]
	v_fma_f64 v[10:11], v[12:13], s[44:45], v[14:15]
	v_add_f64 v[16:17], v[16:17], v[23:24]
	v_mul_f64 v[23:24], v[35:36], s[52:53]
	v_add_f64 v[84:85], v[10:11], v[84:85]
	v_mul_f64 v[10:11], v[8:9], s[16:17]
	v_fma_f64 v[18:19], v[21:22], s[54:55], v[23:24]
	v_fma_f64 v[23:24], v[21:22], s[50:51], v[23:24]
	v_add_f64 v[18:19], v[18:19], v[25:26]
	v_fma_f64 v[25:26], v[37:38], s[52:53], -v[29:30]
	v_add_f64 v[31:32], v[23:24], v[106:107]
	v_mul_f64 v[23:24], v[33:34], s[16:17]
	v_add_f64 v[29:30], v[25:26], v[27:28]
	v_fma_f64 v[25:26], v[37:38], s[14:15], v[23:24]
	v_fma_f64 v[23:24], v[37:38], s[14:15], -v[23:24]
	v_add_f64 v[33:34], v[25:26], v[78:79]
	v_mul_f64 v[25:26], v[35:36], s[14:15]
	v_add_f64 v[37:38], v[23:24], v[45:46]
	v_fma_f64 v[27:28], v[21:22], s[12:13], v[25:26]
	v_fma_f64 v[21:22], v[21:22], s[16:17], v[25:26]
	v_add_f64 v[35:36], v[27:28], v[108:109]
	v_add_f64 v[39:40], v[21:22], v[57:58]
	v_fma_f64 v[21:22], v[12:13], s[48:49], v[14:15]
	v_fma_f64 v[14:15], v[47:48], s[14:15], v[10:11]
	v_fma_f64 v[10:11], v[47:48], s[14:15], -v[10:11]
	v_add_f64 v[78:79], v[21:22], v[86:87]
	v_add_f64 v[86:87], v[14:15], v[90:91]
	v_mul_f64 v[14:15], v[51:52], s[14:15]
	v_add_f64 v[88:89], v[10:11], v[88:89]
	v_fma_f64 v[21:22], v[12:13], s[12:13], v[14:15]
	v_fma_f64 v[10:11], v[12:13], s[16:17], v[14:15]
	v_add_f64 v[90:91], v[21:22], v[92:93]
	v_add_f64 v[92:93], v[10:11], v[94:95]
	v_mul_f64 v[10:11], v[8:9], s[6:7]
	v_fma_f64 v[14:15], v[47:48], s[2:3], v[10:11]
	v_fma_f64 v[10:11], v[47:48], s[2:3], -v[10:11]
	v_add_f64 v[94:95], v[14:15], v[96:97]
	v_mul_f64 v[14:15], v[51:52], s[2:3]
	v_add_f64 v[43:44], v[10:11], v[82:83]
	v_fma_f64 v[10:11], v[12:13], s[6:7], v[14:15]
	v_fma_f64 v[21:22], v[12:13], s[0:1], v[14:15]
	v_add_f64 v[45:46], v[10:11], v[98:99]
	v_mul_f64 v[10:11], v[8:9], s[42:43]
	v_add_f64 v[41:42], v[21:22], v[100:101]
	v_fma_f64 v[14:15], v[47:48], s[40:41], v[10:11]
	v_fma_f64 v[10:11], v[47:48], s[40:41], -v[10:11]
	v_add_f64 v[27:28], v[14:15], v[80:81]
	v_mul_f64 v[14:15], v[51:52], s[40:41]
	v_add_f64 v[23:24], v[10:11], v[63:64]
	v_fma_f64 v[10:11], v[12:13], s[42:43], v[14:15]
	v_fma_f64 v[21:22], v[12:13], s[38:39], v[14:15]
	v_add_f64 v[25:26], v[10:11], v[65:66]
	v_mul_f64 v[10:11], v[8:9], s[28:29]
	v_add_f64 v[21:22], v[21:22], v[61:62]
	;; [unrolled: 10-line block ×3, first 2 shown]
	v_fma_f64 v[14:15], v[47:48], s[52:53], v[10:11]
	v_fma_f64 v[10:11], v[47:48], s[52:53], -v[10:11]
	v_add_f64 v[63:64], v[14:15], v[102:103]
	v_mul_f64 v[14:15], v[51:52], s[52:53]
	v_add_f64 v[96:97], v[10:11], v[110:111]
	v_fma_f64 v[10:11], v[12:13], s[50:51], v[14:15]
	v_fma_f64 v[49:50], v[12:13], s[54:55], v[14:15]
	v_add_f64 v[98:99], v[10:11], v[112:113]
	v_mul_f64 v[10:11], v[8:9], s[22:23]
	v_mul_f64 v[8:9], v[8:9], s[24:25]
	v_add_f64 v[65:66], v[49:50], v[104:105]
	v_fma_f64 v[14:15], v[47:48], s[20:21], v[10:11]
	v_fma_f64 v[10:11], v[47:48], s[20:21], -v[10:11]
	v_add_f64 v[53:54], v[14:15], v[16:17]
	v_mul_f64 v[14:15], v[51:52], s[20:21]
	v_add_f64 v[29:30], v[10:11], v[29:30]
	v_fma_f64 v[16:17], v[12:13], s[18:19], v[14:15]
	v_fma_f64 v[10:11], v[12:13], s[22:23], v[14:15]
	v_add_f64 v[49:50], v[16:17], v[18:19]
	v_add_f64 v[31:32], v[10:11], v[31:32]
	v_fma_f64 v[10:11], v[47:48], s[26:27], v[8:9]
	v_mul_f64 v[16:17], v[51:52], s[26:27]
	v_fma_f64 v[8:9], v[47:48], s[26:27], -v[8:9]
	v_add_f64 v[18:19], v[10:11], v[33:34]
	v_fma_f64 v[10:11], v[12:13], s[30:31], v[16:17]
	v_add_f64 v[14:15], v[10:11], v[35:36]
	v_add_f64 v[10:11], v[8:9], v[37:38]
	v_fma_f64 v[8:9], v[12:13], s[24:25], v[16:17]
	v_add_f64 v[12:13], v[4:5], v[6:7]
	v_add_f64 v[4:5], v[4:5], -v[6:7]
	v_add_f64 v[6:7], v[0:1], -v[2:3]
	v_add_f64 v[16:17], v[0:1], v[2:3]
	v_add_f64 v[8:9], v[8:9], v[39:40]
	v_mul_f64 v[0:1], v[6:7], s[50:51]
	v_mul_f64 v[39:40], v[16:17], s[46:47]
	;; [unrolled: 1-line block ×5, first 2 shown]
	v_fma_f64 v[2:3], v[12:13], s[52:53], v[0:1]
	v_fma_f64 v[0:1], v[12:13], s[52:53], -v[0:1]
	v_fma_f64 v[35:36], v[4:5], s[48:49], v[39:40]
	v_fma_f64 v[39:40], v[4:5], s[44:45], v[39:40]
	v_add_f64 v[80:81], v[2:3], v[76:77]
	v_mul_f64 v[2:3], v[16:17], s[52:53]
	v_add_f64 v[76:77], v[0:1], v[74:75]
	v_add_f64 v[39:40], v[39:40], v[45:46]
	v_mul_f64 v[45:46], v[6:7], s[22:23]
	v_add_f64 v[35:36], v[35:36], v[41:42]
	v_fma_f64 v[33:34], v[4:5], s[54:55], v[2:3]
	v_fma_f64 v[0:1], v[4:5], s[50:51], v[2:3]
	v_fma_f64 v[41:42], v[12:13], s[20:21], v[45:46]
	v_add_f64 v[82:83], v[33:34], v[78:79]
	v_add_f64 v[78:79], v[0:1], v[84:85]
	v_mul_f64 v[0:1], v[6:7], s[36:37]
	v_add_f64 v[41:42], v[41:42], v[27:28]
	v_mul_f64 v[27:28], v[16:17], s[20:21]
	v_fma_f64 v[2:3], v[12:13], s[34:35], v[0:1]
	v_fma_f64 v[0:1], v[12:13], s[34:35], -v[0:1]
	v_add_f64 v[84:85], v[2:3], v[86:87]
	v_mul_f64 v[2:3], v[16:17], s[34:35]
	v_add_f64 v[0:1], v[0:1], v[88:89]
	v_fma_f64 v[33:34], v[4:5], s[28:29], v[2:3]
	v_fma_f64 v[2:3], v[4:5], s[36:37], v[2:3]
	v_add_f64 v[86:87], v[33:34], v[90:91]
	v_fma_f64 v[33:34], v[12:13], s[46:47], v[37:38]
	v_fma_f64 v[37:38], v[12:13], s[46:47], -v[37:38]
	v_add_f64 v[2:3], v[2:3], v[92:93]
	v_add_f64 v[33:34], v[33:34], v[94:95]
	;; [unrolled: 1-line block ×3, first 2 shown]
	v_fma_f64 v[43:44], v[4:5], s[18:19], v[27:28]
	v_add_f64 v[43:44], v[43:44], v[21:22]
	v_fma_f64 v[21:22], v[12:13], s[20:21], -v[45:46]
	v_mul_f64 v[45:46], v[6:7], s[38:39]
	v_add_f64 v[21:22], v[21:22], v[23:24]
	v_fma_f64 v[23:24], v[4:5], s[22:23], v[27:28]
	v_fma_f64 v[27:28], v[4:5], s[42:43], v[47:48]
	;; [unrolled: 1-line block ×3, first 2 shown]
	v_add_f64 v[23:24], v[23:24], v[25:26]
	v_fma_f64 v[25:26], v[12:13], s[40:41], v[45:46]
	v_fma_f64 v[45:46], v[12:13], s[40:41], -v[45:46]
	v_add_f64 v[47:48], v[47:48], v[55:56]
	v_fma_f64 v[55:56], v[12:13], s[14:15], v[51:52]
	v_fma_f64 v[51:52], v[12:13], s[14:15], -v[51:52]
	v_add_f64 v[27:28], v[27:28], v[59:60]
	v_add_f64 v[25:26], v[25:26], v[57:58]
	;; [unrolled: 1-line block ×3, first 2 shown]
	v_mul_f64 v[61:62], v[16:17], s[14:15]
	v_add_f64 v[55:56], v[55:56], v[63:64]
	v_add_f64 v[59:60], v[51:52], v[96:97]
	v_mul_f64 v[63:64], v[6:7], s[24:25]
	v_mul_f64 v[6:7], v[6:7], s[0:1]
	v_fma_f64 v[57:58], v[4:5], s[12:13], v[61:62]
	v_fma_f64 v[51:52], v[4:5], s[16:17], v[61:62]
	v_add_f64 v[57:58], v[57:58], v[65:66]
	v_add_f64 v[61:62], v[51:52], v[98:99]
	v_fma_f64 v[51:52], v[12:13], s[26:27], v[63:64]
	v_mul_f64 v[65:66], v[16:17], s[26:27]
	v_mul_f64 v[16:17], v[16:17], s[2:3]
	v_add_f64 v[51:52], v[51:52], v[53:54]
	v_fma_f64 v[53:54], v[4:5], s[30:31], v[65:66]
	v_add_f64 v[53:54], v[53:54], v[49:50]
	v_fma_f64 v[49:50], v[12:13], s[26:27], -v[63:64]
	v_add_f64 v[29:30], v[49:50], v[29:30]
	v_fma_f64 v[49:50], v[4:5], s[24:25], v[65:66]
	v_add_f64 v[31:32], v[49:50], v[31:32]
	v_fma_f64 v[49:50], v[12:13], s[2:3], v[6:7]
	v_fma_f64 v[6:7], v[12:13], s[2:3], -v[6:7]
	v_add_f64 v[63:64], v[49:50], v[18:19]
	v_fma_f64 v[18:19], v[4:5], s[6:7], v[16:17]
	v_fma_f64 v[4:5], v[4:5], s[0:1], v[16:17]
	v_add_f64 v[6:7], v[6:7], v[10:11]
	v_add_f64 v[65:66], v[18:19], v[14:15]
	;; [unrolled: 1-line block ×3, first 2 shown]
	ds_write_b128 v73, v[126:129]
	ds_write_b128 v73, v[80:83] offset:544
	ds_write_b128 v73, v[84:87] offset:1088
	;; [unrolled: 1-line block ×16, first 2 shown]
	s_waitcnt lgkmcnt(0)
	s_barrier
	buffer_gl0_inv
	ds_read_b128 v[0:3], v20
	ds_read_b128 v[104:107], v20 offset:9248
	ds_read_b128 v[72:75], v20 offset:1088
	;; [unrolled: 1-line block ×15, first 2 shown]
	s_and_saveexec_b32 s0, vcc_lo
	s_cbranch_execz .LBB0_15
; %bb.14:
	ds_read_b128 v[76:79], v20 offset:8704
	ds_read_b128 v[68:71], v20 offset:17952
.LBB0_15:
	s_or_b32 exec_lo, exec_lo, s0
	buffer_load_dword v65, off, s[56:59], 0 offset:12 ; 4-byte Folded Reload
	s_waitcnt lgkmcnt(14)
	v_mul_f64 v[8:9], v[174:175], v[106:107]
	v_mul_f64 v[10:11], v[174:175], v[104:105]
	s_waitcnt lgkmcnt(12)
	v_mul_f64 v[12:13], v[178:179], v[110:111]
	v_mul_f64 v[14:15], v[178:179], v[108:109]
	;; [unrolled: 3-line block ×8, first 2 shown]
	v_fma_f64 v[8:9], v[172:173], v[104:105], v[8:9]
	v_fma_f64 v[10:11], v[172:173], v[106:107], -v[10:11]
	v_fma_f64 v[12:13], v[176:177], v[108:109], v[12:13]
	v_fma_f64 v[14:15], v[176:177], v[110:111], -v[14:15]
	;; [unrolled: 2-line block ×8, first 2 shown]
	v_add_f64 v[4:5], v[0:1], -v[8:9]
	v_add_f64 v[6:7], v[2:3], -v[10:11]
	;; [unrolled: 1-line block ×16, first 2 shown]
	v_fma_f64 v[0:1], v[0:1], 2.0, -v[4:5]
	v_fma_f64 v[2:3], v[2:3], 2.0, -v[6:7]
	;; [unrolled: 1-line block ×16, first 2 shown]
	ds_write_b128 v20, v[0:3]
	s_waitcnt vmcnt(0)
	ds_write_b128 v65, v[4:7] offset:9248
	ds_write_b128 v20, v[37:40] offset:1088
	;; [unrolled: 1-line block ×15, first 2 shown]
	s_and_saveexec_b32 s0, vcc_lo
	s_cbranch_execz .LBB0_17
; %bb.16:
	s_clause 0x3
	buffer_load_dword v4, off, s[56:59], 0 offset:396
	buffer_load_dword v5, off, s[56:59], 0 offset:400
	buffer_load_dword v6, off, s[56:59], 0 offset:404
	buffer_load_dword v7, off, s[56:59], 0 offset:408
	s_waitcnt vmcnt(0)
	v_mul_f64 v[0:1], v[6:7], v[68:69]
	v_mul_f64 v[2:3], v[6:7], v[70:71]
	v_fma_f64 v[0:1], v[4:5], v[70:71], -v[0:1]
	v_fma_f64 v[4:5], v[4:5], v[68:69], v[2:3]
	v_add_f64 v[2:3], v[78:79], -v[0:1]
	v_add_f64 v[0:1], v[76:77], -v[4:5]
	v_fma_f64 v[6:7], v[78:79], 2.0, -v[2:3]
	v_fma_f64 v[4:5], v[76:77], 2.0, -v[0:1]
	ds_write_b128 v20, v[4:7] offset:8704
	ds_write_b128 v65, v[0:3] offset:17952
.LBB0_17:
	s_or_b32 exec_lo, exec_lo, s0
	s_waitcnt lgkmcnt(0)
	s_barrier
	buffer_gl0_inv
	ds_read_b128 v[0:3], v20
	ds_read_b128 v[4:7], v20 offset:1088
	ds_read_b128 v[8:11], v20 offset:2176
	s_clause 0x2
	buffer_load_dword v12, off, s[56:59], 0 offset:16
	buffer_load_dword v13, off, s[56:59], 0 offset:20
	buffer_load_dword v55, off, s[56:59], 0
	s_mov_b32 s0, 0xd10d4986
	s_mov_b32 s1, 0x3f4c5894
	s_mul_i32 s3, s9, 0x440
	s_mul_hi_u32 s6, s8, 0x440
	s_mul_i32 s2, s8, 0x440
	s_add_i32 s3, s6, s3
	ds_read_b128 v[16:19], v20 offset:4352
	s_waitcnt vmcnt(2)
	v_mov_b32_e32 v53, v12
	s_waitcnt vmcnt(1)
	ds_read_b128 v[12:15], v20 offset:3264
	s_clause 0x3
	buffer_load_dword v63, off, s[56:59], 0 offset:24
	buffer_load_dword v64, off, s[56:59], 0 offset:28
	;; [unrolled: 1-line block ×4, first 2 shown]
	s_waitcnt vmcnt(4)
	v_mad_u64_u32 v[39:40], null, s8, v55, 0
	v_mad_u64_u32 v[37:38], null, s10, v53, 0
	;; [unrolled: 1-line block ×3, first 2 shown]
	v_mov_b32_e32 v38, v53
	v_lshlrev_b64 v[37:38], 4, v[37:38]
	s_waitcnt vmcnt(0) lgkmcnt(4)
	v_mul_f64 v[41:42], v[65:66], v[2:3]
	v_mul_f64 v[43:44], v[65:66], v[0:1]
	s_clause 0x7
	buffer_load_dword v65, off, s[56:59], 0 offset:40
	buffer_load_dword v66, off, s[56:59], 0 offset:44
	buffer_load_dword v67, off, s[56:59], 0 offset:48
	buffer_load_dword v68, off, s[56:59], 0 offset:52
	buffer_load_dword v71, off, s[56:59], 0 offset:72
	buffer_load_dword v72, off, s[56:59], 0 offset:76
	buffer_load_dword v73, off, s[56:59], 0 offset:80
	buffer_load_dword v74, off, s[56:59], 0 offset:84
	ds_read_b128 v[21:24], v20 offset:5440
	ds_read_b128 v[25:28], v20 offset:6528
	;; [unrolled: 1-line block ×4, first 2 shown]
	v_fma_f64 v[0:1], v[63:64], v[0:1], v[41:42]
	v_fma_f64 v[2:3], v[63:64], v[2:3], -v[43:44]
	v_mad_u64_u32 v[54:55], null, s9, v55, v[40:41]
	v_mov_b32_e32 v40, v54
	v_lshlrev_b64 v[39:40], 4, v[39:40]
	v_mul_f64 v[0:1], v[0:1], s[0:1]
	v_mul_f64 v[2:3], v[2:3], s[0:1]
	s_waitcnt vmcnt(4) lgkmcnt(7)
	v_mul_f64 v[45:46], v[67:68], v[6:7]
	v_mul_f64 v[47:48], v[67:68], v[4:5]
	s_waitcnt vmcnt(0) lgkmcnt(6)
	v_mul_f64 v[49:50], v[73:74], v[10:11]
	v_mul_f64 v[51:52], v[73:74], v[8:9]
	s_clause 0x7
	buffer_load_dword v67, off, s[56:59], 0 offset:56
	buffer_load_dword v68, off, s[56:59], 0 offset:60
	buffer_load_dword v69, off, s[56:59], 0 offset:64
	buffer_load_dword v70, off, s[56:59], 0 offset:68
	buffer_load_dword v73, off, s[56:59], 0 offset:104
	buffer_load_dword v74, off, s[56:59], 0 offset:108
	buffer_load_dword v75, off, s[56:59], 0 offset:112
	buffer_load_dword v76, off, s[56:59], 0 offset:116
	v_fma_f64 v[4:5], v[65:66], v[4:5], v[45:46]
	v_fma_f64 v[6:7], v[65:66], v[6:7], -v[47:48]
	s_clause 0x3
	buffer_load_dword v63, off, s[56:59], 0 offset:120
	buffer_load_dword v64, off, s[56:59], 0 offset:124
	;; [unrolled: 1-line block ×4, first 2 shown]
	v_fma_f64 v[8:9], v[71:72], v[8:9], v[49:50]
	v_fma_f64 v[10:11], v[71:72], v[10:11], -v[51:52]
	v_add_co_u32 v49, vcc_lo, s4, v37
	v_add_co_ci_u32_e32 v50, vcc_lo, s5, v38, vcc_lo
	v_add_co_u32 v39, vcc_lo, v49, v39
	v_add_co_ci_u32_e32 v40, vcc_lo, v50, v40, vcc_lo
	;; [unrolled: 2-line block ×3, first 2 shown]
	v_mul_f64 v[4:5], v[4:5], s[0:1]
	v_mul_f64 v[6:7], v[6:7], s[0:1]
	;; [unrolled: 1-line block ×4, first 2 shown]
	s_waitcnt vmcnt(8) lgkmcnt(4)
	v_mul_f64 v[55:56], v[69:70], v[14:15]
	s_waitcnt vmcnt(4)
	v_mul_f64 v[59:60], v[75:76], v[18:19]
	v_mul_f64 v[61:62], v[75:76], v[16:17]
	s_clause 0x3
	buffer_load_dword v75, off, s[56:59], 0 offset:200
	buffer_load_dword v76, off, s[56:59], 0 offset:204
	;; [unrolled: 1-line block ×4, first 2 shown]
	v_mul_f64 v[57:58], v[69:70], v[12:13]
	s_clause 0x3
	buffer_load_dword v69, off, s[56:59], 0 offset:168
	buffer_load_dword v70, off, s[56:59], 0 offset:172
	;; [unrolled: 1-line block ×4, first 2 shown]
	s_waitcnt vmcnt(8) lgkmcnt(3)
	v_mul_f64 v[41:42], v[65:66], v[23:24]
	v_mul_f64 v[43:44], v[65:66], v[21:22]
	v_fma_f64 v[12:13], v[67:68], v[12:13], v[55:56]
	v_fma_f64 v[16:17], v[73:74], v[16:17], v[59:60]
	v_fma_f64 v[18:19], v[73:74], v[18:19], -v[61:62]
	v_fma_f64 v[14:15], v[67:68], v[14:15], -v[57:58]
	v_fma_f64 v[21:22], v[63:64], v[21:22], v[41:42]
	v_add_co_u32 v41, vcc_lo, v51, s2
	v_add_co_ci_u32_e32 v42, vcc_lo, s3, v52, vcc_lo
	global_store_dwordx4 v[39:40], v[0:3], off
	global_store_dwordx4 v[51:52], v[4:7], off
	;; [unrolled: 1-line block ×3, first 2 shown]
	ds_read_b128 v[4:7], v20 offset:9792
	v_fma_f64 v[23:24], v[63:64], v[23:24], -v[43:44]
	v_mul_f64 v[0:1], v[12:13], s[0:1]
	v_mul_f64 v[2:3], v[14:15], s[0:1]
	;; [unrolled: 1-line block ×4, first 2 shown]
	v_add_co_u32 v41, vcc_lo, v41, s2
	v_add_co_ci_u32_e32 v42, vcc_lo, s3, v42, vcc_lo
	v_mul_f64 v[12:13], v[21:22], s[0:1]
	v_mul_f64 v[14:15], v[23:24], s[0:1]
	s_waitcnt vmcnt(4) lgkmcnt(3)
	v_mul_f64 v[45:46], v[77:78], v[27:28]
	v_mul_f64 v[47:48], v[77:78], v[25:26]
	s_waitcnt vmcnt(0) lgkmcnt(2)
	v_mul_f64 v[37:38], v[71:72], v[31:32]
	v_mul_f64 v[49:50], v[71:72], v[29:30]
	v_fma_f64 v[25:26], v[75:76], v[25:26], v[45:46]
	v_fma_f64 v[27:28], v[75:76], v[27:28], -v[47:48]
	s_clause 0x3
	buffer_load_dword v45, off, s[56:59], 0 offset:216
	buffer_load_dword v46, off, s[56:59], 0 offset:220
	;; [unrolled: 1-line block ×4, first 2 shown]
	ds_read_b128 v[21:24], v20 offset:10880
	s_clause 0x3
	buffer_load_dword v51, off, s[56:59], 0 offset:88
	buffer_load_dword v52, off, s[56:59], 0 offset:92
	;; [unrolled: 1-line block ×4, first 2 shown]
	v_mul_f64 v[16:17], v[25:26], s[0:1]
	v_mul_f64 v[18:19], v[27:28], s[0:1]
	v_fma_f64 v[25:26], v[69:70], v[29:30], v[37:38]
	v_fma_f64 v[27:28], v[69:70], v[31:32], -v[49:50]
	v_add_co_u32 v29, vcc_lo, v41, s2
	v_add_co_ci_u32_e32 v30, vcc_lo, s3, v42, vcc_lo
	global_store_dwordx4 v[41:42], v[0:3], off
	global_store_dwordx4 v[29:30], v[8:11], off
	v_add_co_u32 v31, vcc_lo, v29, s2
	v_add_co_ci_u32_e32 v32, vcc_lo, s3, v30, vcc_lo
	ds_read_b128 v[0:3], v20 offset:11968
	v_add_co_u32 v37, vcc_lo, v31, s2
	v_add_co_ci_u32_e32 v38, vcc_lo, s3, v32, vcc_lo
	global_store_dwordx4 v[31:32], v[12:15], off
	global_store_dwordx4 v[37:38], v[16:19], off
	v_add_co_u32 v49, vcc_lo, v37, s2
	v_mul_f64 v[8:9], v[25:26], s[0:1]
	v_mul_f64 v[10:11], v[27:28], s[0:1]
	s_clause 0x3
	buffer_load_dword v57, off, s[56:59], 0 offset:152
	buffer_load_dword v58, off, s[56:59], 0 offset:156
	;; [unrolled: 1-line block ×4, first 2 shown]
	ds_read_b128 v[12:15], v20 offset:13056
	ds_read_b128 v[16:19], v20 offset:14144
	;; [unrolled: 1-line block ×3, first 2 shown]
	v_add_co_ci_u32_e32 v50, vcc_lo, s3, v38, vcc_lo
	ds_read_b128 v[29:32], v20 offset:16320
	s_waitcnt vmcnt(8) lgkmcnt(7)
	v_mul_f64 v[39:40], v[47:48], v[35:36]
	v_mul_f64 v[43:44], v[47:48], v[33:34]
	v_fma_f64 v[33:34], v[45:46], v[33:34], v[39:40]
	ds_read_b128 v[37:40], v20 offset:17408
	s_clause 0x3
	buffer_load_dword v69, off, s[56:59], 0 offset:136
	buffer_load_dword v70, off, s[56:59], 0 offset:140
	;; [unrolled: 1-line block ×4, first 2 shown]
	v_fma_f64 v[35:36], v[45:46], v[35:36], -v[43:44]
	s_waitcnt vmcnt(8) lgkmcnt(7)
	v_mul_f64 v[43:44], v[53:54], v[6:7]
	v_mul_f64 v[45:46], v[53:54], v[4:5]
	;; [unrolled: 1-line block ×3, first 2 shown]
	s_waitcnt vmcnt(4) lgkmcnt(6)
	v_mul_f64 v[41:42], v[59:60], v[23:24]
	v_fma_f64 v[4:5], v[51:52], v[4:5], v[43:44]
	v_fma_f64 v[6:7], v[51:52], v[6:7], -v[45:46]
	v_mul_f64 v[47:48], v[59:60], v[21:22]
	v_mul_f64 v[35:36], v[35:36], s[0:1]
	v_add_co_u32 v51, vcc_lo, v49, s2
	v_add_co_ci_u32_e32 v52, vcc_lo, s3, v50, vcc_lo
	v_fma_f64 v[20:21], v[57:58], v[21:22], v[41:42]
	v_mul_f64 v[4:5], v[4:5], s[0:1]
	v_mul_f64 v[6:7], v[6:7], s[0:1]
	v_fma_f64 v[22:23], v[57:58], v[23:24], -v[47:48]
	s_waitcnt vmcnt(0) lgkmcnt(5)
	v_mul_f64 v[43:44], v[71:72], v[2:3]
	v_mul_f64 v[45:46], v[71:72], v[0:1]
	s_clause 0x3
	buffer_load_dword v71, off, s[56:59], 0 offset:184
	buffer_load_dword v72, off, s[56:59], 0 offset:188
	;; [unrolled: 1-line block ×4, first 2 shown]
	s_waitcnt vmcnt(0) lgkmcnt(4)
	v_mul_f64 v[53:54], v[73:74], v[14:15]
	v_mul_f64 v[55:56], v[73:74], v[12:13]
	s_clause 0x3
	buffer_load_dword v73, off, s[56:59], 0 offset:232
	buffer_load_dword v74, off, s[56:59], 0 offset:236
	;; [unrolled: 1-line block ×4, first 2 shown]
	v_fma_f64 v[12:13], v[71:72], v[12:13], v[53:54]
	v_fma_f64 v[14:15], v[71:72], v[14:15], -v[55:56]
	v_mul_f64 v[12:13], v[12:13], s[0:1]
	v_mul_f64 v[14:15], v[14:15], s[0:1]
	s_waitcnt vmcnt(0) lgkmcnt(3)
	v_mul_f64 v[41:42], v[75:76], v[18:19]
	v_mul_f64 v[47:48], v[75:76], v[16:17]
	s_clause 0x3
	buffer_load_dword v75, off, s[56:59], 0 offset:248
	buffer_load_dword v76, off, s[56:59], 0 offset:252
	;; [unrolled: 1-line block ×4, first 2 shown]
	v_fma_f64 v[16:17], v[73:74], v[16:17], v[41:42]
	v_fma_f64 v[18:19], v[73:74], v[18:19], -v[47:48]
	v_mul_f64 v[16:17], v[16:17], s[0:1]
	v_mul_f64 v[18:19], v[18:19], s[0:1]
	s_waitcnt vmcnt(0) lgkmcnt(2)
	v_mul_f64 v[57:58], v[77:78], v[27:28]
	v_mul_f64 v[59:60], v[77:78], v[25:26]
	s_clause 0x3
	buffer_load_dword v77, off, s[56:59], 0 offset:264
	buffer_load_dword v78, off, s[56:59], 0 offset:268
	;; [unrolled: 1-line block ×4, first 2 shown]
	s_waitcnt vmcnt(0) lgkmcnt(1)
	v_mul_f64 v[61:62], v[79:80], v[31:32]
	v_mul_f64 v[63:64], v[79:80], v[29:30]
	s_clause 0x3
	buffer_load_dword v79, off, s[56:59], 0 offset:280
	buffer_load_dword v80, off, s[56:59], 0 offset:284
	;; [unrolled: 1-line block ×4, first 2 shown]
	global_store_dwordx4 v[49:50], v[8:11], off
	global_store_dwordx4 v[51:52], v[33:36], off
	v_fma_f64 v[8:9], v[69:70], v[0:1], v[43:44]
	v_fma_f64 v[10:11], v[69:70], v[2:3], -v[45:46]
	v_mul_f64 v[0:1], v[20:21], s[0:1]
	v_mul_f64 v[2:3], v[22:23], s[0:1]
	v_fma_f64 v[20:21], v[75:76], v[25:26], v[57:58]
	v_fma_f64 v[22:23], v[75:76], v[27:28], -v[59:60]
	v_add_co_u32 v33, vcc_lo, v51, s2
	v_add_co_ci_u32_e32 v34, vcc_lo, s3, v52, vcc_lo
	v_add_co_u32 v35, vcc_lo, v33, s2
	v_add_co_ci_u32_e32 v36, vcc_lo, s3, v34, vcc_lo
	global_store_dwordx4 v[33:34], v[4:7], off
	v_fma_f64 v[24:25], v[77:78], v[29:30], v[61:62]
	v_fma_f64 v[26:27], v[77:78], v[31:32], -v[63:64]
	v_mul_f64 v[8:9], v[8:9], s[0:1]
	v_mul_f64 v[10:11], v[10:11], s[0:1]
	global_store_dwordx4 v[35:36], v[0:3], off
	v_mul_f64 v[20:21], v[20:21], s[0:1]
	v_mul_f64 v[22:23], v[22:23], s[0:1]
	;; [unrolled: 1-line block ×4, first 2 shown]
	s_waitcnt vmcnt(0) lgkmcnt(0)
	v_mul_f64 v[65:66], v[81:82], v[39:40]
	v_mul_f64 v[67:68], v[81:82], v[37:38]
	v_fma_f64 v[28:29], v[79:80], v[37:38], v[65:66]
	v_fma_f64 v[30:31], v[79:80], v[39:40], -v[67:68]
	v_add_co_u32 v37, vcc_lo, v35, s2
	v_add_co_ci_u32_e32 v38, vcc_lo, s3, v36, vcc_lo
	v_add_co_u32 v39, vcc_lo, v37, s2
	v_add_co_ci_u32_e32 v40, vcc_lo, s3, v38, vcc_lo
	global_store_dwordx4 v[37:38], v[8:11], off
	v_add_co_u32 v41, vcc_lo, v39, s2
	v_add_co_ci_u32_e32 v42, vcc_lo, s3, v40, vcc_lo
	v_add_co_u32 v4, vcc_lo, v41, s2
	v_add_co_ci_u32_e32 v5, vcc_lo, s3, v42, vcc_lo
	v_mul_f64 v[28:29], v[28:29], s[0:1]
	v_mul_f64 v[30:31], v[30:31], s[0:1]
	v_add_co_u32 v0, vcc_lo, v4, s2
	v_add_co_ci_u32_e32 v1, vcc_lo, s3, v5, vcc_lo
	v_add_co_u32 v2, vcc_lo, v0, s2
	v_add_co_ci_u32_e32 v3, vcc_lo, s3, v1, vcc_lo
	global_store_dwordx4 v[39:40], v[12:15], off
	global_store_dwordx4 v[41:42], v[16:19], off
	;; [unrolled: 1-line block ×5, first 2 shown]
.LBB0_18:
	s_endpgm
	.section	.rodata,"a",@progbits
	.p2align	6, 0x0
	.amdhsa_kernel bluestein_single_fwd_len1156_dim1_dp_op_CI_CI
		.amdhsa_group_segment_fixed_size 55488
		.amdhsa_private_segment_fixed_size 416
		.amdhsa_kernarg_size 104
		.amdhsa_user_sgpr_count 6
		.amdhsa_user_sgpr_private_segment_buffer 1
		.amdhsa_user_sgpr_dispatch_ptr 0
		.amdhsa_user_sgpr_queue_ptr 0
		.amdhsa_user_sgpr_kernarg_segment_ptr 1
		.amdhsa_user_sgpr_dispatch_id 0
		.amdhsa_user_sgpr_flat_scratch_init 0
		.amdhsa_user_sgpr_private_segment_size 0
		.amdhsa_wavefront_size32 1
		.amdhsa_uses_dynamic_stack 0
		.amdhsa_system_sgpr_private_segment_wavefront_offset 1
		.amdhsa_system_sgpr_workgroup_id_x 1
		.amdhsa_system_sgpr_workgroup_id_y 0
		.amdhsa_system_sgpr_workgroup_id_z 0
		.amdhsa_system_sgpr_workgroup_info 0
		.amdhsa_system_vgpr_workitem_id 0
		.amdhsa_next_free_vgpr 256
		.amdhsa_next_free_sgpr 60
		.amdhsa_reserve_vcc 1
		.amdhsa_reserve_flat_scratch 0
		.amdhsa_float_round_mode_32 0
		.amdhsa_float_round_mode_16_64 0
		.amdhsa_float_denorm_mode_32 3
		.amdhsa_float_denorm_mode_16_64 3
		.amdhsa_dx10_clamp 1
		.amdhsa_ieee_mode 1
		.amdhsa_fp16_overflow 0
		.amdhsa_workgroup_processor_mode 1
		.amdhsa_memory_ordered 1
		.amdhsa_forward_progress 0
		.amdhsa_shared_vgpr_count 0
		.amdhsa_exception_fp_ieee_invalid_op 0
		.amdhsa_exception_fp_denorm_src 0
		.amdhsa_exception_fp_ieee_div_zero 0
		.amdhsa_exception_fp_ieee_overflow 0
		.amdhsa_exception_fp_ieee_underflow 0
		.amdhsa_exception_fp_ieee_inexact 0
		.amdhsa_exception_int_div_zero 0
	.end_amdhsa_kernel
	.text
.Lfunc_end0:
	.size	bluestein_single_fwd_len1156_dim1_dp_op_CI_CI, .Lfunc_end0-bluestein_single_fwd_len1156_dim1_dp_op_CI_CI
                                        ; -- End function
	.section	.AMDGPU.csdata,"",@progbits
; Kernel info:
; codeLenInByte = 37496
; NumSgprs: 62
; NumVgprs: 256
; ScratchSize: 416
; MemoryBound: 0
; FloatMode: 240
; IeeeMode: 1
; LDSByteSize: 55488 bytes/workgroup (compile time only)
; SGPRBlocks: 7
; VGPRBlocks: 31
; NumSGPRsForWavesPerEU: 62
; NumVGPRsForWavesPerEU: 256
; Occupancy: 4
; WaveLimiterHint : 1
; COMPUTE_PGM_RSRC2:SCRATCH_EN: 1
; COMPUTE_PGM_RSRC2:USER_SGPR: 6
; COMPUTE_PGM_RSRC2:TRAP_HANDLER: 0
; COMPUTE_PGM_RSRC2:TGID_X_EN: 1
; COMPUTE_PGM_RSRC2:TGID_Y_EN: 0
; COMPUTE_PGM_RSRC2:TGID_Z_EN: 0
; COMPUTE_PGM_RSRC2:TIDIG_COMP_CNT: 0
	.text
	.p2alignl 6, 3214868480
	.fill 48, 4, 3214868480
	.type	__hip_cuid_f81de2572f3d7fca,@object ; @__hip_cuid_f81de2572f3d7fca
	.section	.bss,"aw",@nobits
	.globl	__hip_cuid_f81de2572f3d7fca
__hip_cuid_f81de2572f3d7fca:
	.byte	0                               ; 0x0
	.size	__hip_cuid_f81de2572f3d7fca, 1

	.ident	"AMD clang version 19.0.0git (https://github.com/RadeonOpenCompute/llvm-project roc-6.4.0 25133 c7fe45cf4b819c5991fe208aaa96edf142730f1d)"
	.section	".note.GNU-stack","",@progbits
	.addrsig
	.addrsig_sym __hip_cuid_f81de2572f3d7fca
	.amdgpu_metadata
---
amdhsa.kernels:
  - .args:
      - .actual_access:  read_only
        .address_space:  global
        .offset:         0
        .size:           8
        .value_kind:     global_buffer
      - .actual_access:  read_only
        .address_space:  global
        .offset:         8
        .size:           8
        .value_kind:     global_buffer
      - .actual_access:  read_only
        .address_space:  global
        .offset:         16
        .size:           8
        .value_kind:     global_buffer
      - .actual_access:  read_only
        .address_space:  global
        .offset:         24
        .size:           8
        .value_kind:     global_buffer
      - .actual_access:  read_only
        .address_space:  global
        .offset:         32
        .size:           8
        .value_kind:     global_buffer
      - .offset:         40
        .size:           8
        .value_kind:     by_value
      - .address_space:  global
        .offset:         48
        .size:           8
        .value_kind:     global_buffer
      - .address_space:  global
        .offset:         56
        .size:           8
        .value_kind:     global_buffer
      - .address_space:  global
        .offset:         64
        .size:           8
        .value_kind:     global_buffer
      - .address_space:  global
        .offset:         72
        .size:           8
        .value_kind:     global_buffer
      - .offset:         80
        .size:           4
        .value_kind:     by_value
      - .address_space:  global
        .offset:         88
        .size:           8
        .value_kind:     global_buffer
      - .address_space:  global
        .offset:         96
        .size:           8
        .value_kind:     global_buffer
    .group_segment_fixed_size: 55488
    .kernarg_segment_align: 8
    .kernarg_segment_size: 104
    .language:       OpenCL C
    .language_version:
      - 2
      - 0
    .max_flat_workgroup_size: 204
    .name:           bluestein_single_fwd_len1156_dim1_dp_op_CI_CI
    .private_segment_fixed_size: 416
    .sgpr_count:     62
    .sgpr_spill_count: 0
    .symbol:         bluestein_single_fwd_len1156_dim1_dp_op_CI_CI.kd
    .uniform_work_group_size: 1
    .uses_dynamic_stack: false
    .vgpr_count:     256
    .vgpr_spill_count: 104
    .wavefront_size: 32
    .workgroup_processor_mode: 1
amdhsa.target:   amdgcn-amd-amdhsa--gfx1030
amdhsa.version:
  - 1
  - 2
...

	.end_amdgpu_metadata
